;; amdgpu-corpus repo=ROCm/rocSPARSE kind=compiled arch=gfx906 opt=O3
	.amdgcn_target "amdgcn-amd-amdhsa--gfx906"
	.amdhsa_code_object_version 6
	.section	.text._ZN9rocsparseL30csr2ell_strided_batched_kernelILj512EiiiEEvT2_PKT0_lPKT1_PKS1_21rocsparse_index_base_S1_PS1_PS2_lSA_,"axG",@progbits,_ZN9rocsparseL30csr2ell_strided_batched_kernelILj512EiiiEEvT2_PKT0_lPKT1_PKS1_21rocsparse_index_base_S1_PS1_PS2_lSA_,comdat
	.globl	_ZN9rocsparseL30csr2ell_strided_batched_kernelILj512EiiiEEvT2_PKT0_lPKT1_PKS1_21rocsparse_index_base_S1_PS1_PS2_lSA_ ; -- Begin function _ZN9rocsparseL30csr2ell_strided_batched_kernelILj512EiiiEEvT2_PKT0_lPKT1_PKS1_21rocsparse_index_base_S1_PS1_PS2_lSA_
	.p2align	8
	.type	_ZN9rocsparseL30csr2ell_strided_batched_kernelILj512EiiiEEvT2_PKT0_lPKT1_PKS1_21rocsparse_index_base_S1_PS1_PS2_lSA_,@function
_ZN9rocsparseL30csr2ell_strided_batched_kernelILj512EiiiEEvT2_PKT0_lPKT1_PKS1_21rocsparse_index_base_S1_PS1_PS2_lSA_: ; @_ZN9rocsparseL30csr2ell_strided_batched_kernelILj512EiiiEEvT2_PKT0_lPKT1_PKS1_21rocsparse_index_base_S1_PS1_PS2_lSA_
; %bb.0:
	s_load_dword s16, s[4:5], 0x0
	s_lshl_b32 s6, s6, 9
	v_or_b32_e32 v1, s6, v0
	s_waitcnt lgkmcnt(0)
	v_cmp_gt_i32_e32 vcc, s16, v1
	s_and_saveexec_b64 s[0:1], vcc
	s_cbranch_execz .LBB0_7
; %bb.1:
	s_load_dwordx8 s[8:15], s[4:5], 0x8
	v_ashrrev_i32_e32 v2, 31, v1
	v_lshlrev_b64 v[2:3], 2, v[1:2]
	s_waitcnt lgkmcnt(0)
	v_mov_b32_e32 v4, s13
	v_add_co_u32_e32 v2, vcc, s12, v2
	v_addc_co_u32_e32 v3, vcc, v4, v3, vcc
	global_load_dwordx2 v[4:5], v[2:3], off
	s_load_dwordx2 s[18:19], s[4:5], 0x40
	s_load_dwordx2 s[12:13], s[4:5], 0x28
	s_load_dwordx4 s[0:3], s[4:5], 0x30
	s_waitcnt lgkmcnt(0)
	s_mul_i32 s17, s19, s7
	s_mul_hi_u32 s19, s18, s7
	s_mul_i32 s18, s18, s7
	s_add_i32 s19, s19, s17
	s_lshl_b64 s[18:19], s[18:19], 2
	s_add_u32 s17, s2, s18
	s_addc_u32 s18, s3, s19
	s_cmp_gt_i32 s13, 0
	s_cselect_b64 s[2:3], -1, 0
	s_waitcnt vmcnt(0)
	v_cmp_lt_i32_e32 vcc, v4, v5
	v_subrev_u32_e32 v3, s12, v4
	v_subrev_u32_e32 v8, s12, v5
	s_and_b64 s[20:21], s[2:3], vcc
	s_and_saveexec_b64 s[2:3], s[20:21]
	s_cbranch_execz .LBB0_4
; %bb.2:
	s_load_dword s4, s[4:5], 0x48
	v_ashrrev_i32_e32 v4, 31, v3
	s_mul_hi_u32 s5, s10, s7
	v_lshlrev_b64 v[6:7], 2, v[3:4]
	v_mov_b32_e32 v2, s15
	s_waitcnt lgkmcnt(0)
	s_sub_i32 s12, s4, s12
	s_mul_i32 s4, s11, s7
	s_add_i32 s5, s5, s4
	s_mul_i32 s4, s10, s7
	s_lshl_b64 s[4:5], s[4:5], 2
	v_add_co_u32_e32 v4, vcc, s14, v6
	s_add_u32 s4, s8, s4
	v_addc_co_u32_e32 v5, vcc, v2, v7, vcc
	s_addc_u32 s5, s9, s5
	v_mov_b32_e32 v2, s5
	v_add_co_u32_e32 v6, vcc, s4, v6
	v_addc_co_u32_e32 v7, vcc, v2, v7, vcc
	s_mov_b32 s7, 1
	s_mov_b64 s[4:5], 0
	v_mov_b32_e32 v9, s1
	v_mov_b32_e32 v10, s18
.LBB0_3:                                ; =>This Inner Loop Header: Depth=1
	global_load_dword v15, v[4:5], off
	v_ashrrev_i32_e32 v2, 31, v1
	v_lshlrev_b64 v[11:12], 2, v[1:2]
	s_cmp_ge_i32 s7, s13
	v_add_co_u32_e32 v13, vcc, s0, v11
	v_addc_co_u32_e32 v14, vcc, v9, v12, vcc
	v_add_co_u32_e32 v4, vcc, 4, v4
	v_addc_co_u32_e32 v5, vcc, 0, v5, vcc
	s_cselect_b64 s[8:9], -1, 0
	v_add_u32_e32 v1, s16, v1
	s_waitcnt vmcnt(0)
	v_add_u32_e32 v2, s12, v15
	global_store_dword v[13:14], v2, off
	global_load_dword v2, v[6:7], off
	v_add_u32_e32 v13, s7, v3
	v_cmp_ge_i32_e32 vcc, v13, v8
	s_or_b64 s[8:9], vcc, s[8:9]
	v_add_co_u32_e32 v11, vcc, s17, v11
	s_add_i32 s7, s7, 1
	v_addc_co_u32_e32 v12, vcc, v10, v12, vcc
	s_and_b64 s[8:9], exec, s[8:9]
	v_add_co_u32_e32 v6, vcc, 4, v6
	s_or_b64 s[4:5], s[8:9], s[4:5]
	v_addc_co_u32_e32 v7, vcc, 0, v7, vcc
	s_waitcnt vmcnt(0)
	global_store_dword v[11:12], v2, off
	s_andn2_b64 exec, exec, s[4:5]
	s_cbranch_execnz .LBB0_3
.LBB0_4:
	s_or_b64 exec, exec, s[2:3]
	v_sub_u32_e32 v2, v8, v3
	v_cmp_gt_i32_e32 vcc, s13, v2
	s_and_b64 exec, exec, vcc
	s_cbranch_execz .LBB0_7
; %bb.5:
	v_mul_lo_u32 v1, s16, v2
	s_mov_b64 s[2:3], 0
	v_mov_b32_e32 v3, s1
	v_mov_b32_e32 v4, -1
	v_add3_u32 v0, v0, v1, s6
	v_mov_b32_e32 v5, s18
	v_mov_b32_e32 v6, 0
.LBB0_6:                                ; =>This Inner Loop Header: Depth=1
	v_ashrrev_i32_e32 v1, 31, v0
	v_lshlrev_b64 v[7:8], 2, v[0:1]
	v_add_u32_e32 v2, 1, v2
	v_add_co_u32_e32 v9, vcc, s0, v7
	v_addc_co_u32_e32 v10, vcc, v3, v8, vcc
	v_add_co_u32_e32 v7, vcc, s17, v7
	v_addc_co_u32_e32 v8, vcc, v5, v8, vcc
	v_cmp_le_i32_e32 vcc, s13, v2
	s_or_b64 s[2:3], vcc, s[2:3]
	v_add_u32_e32 v0, s16, v0
	global_store_dword v[9:10], v4, off
	global_store_dword v[7:8], v6, off
	s_andn2_b64 exec, exec, s[2:3]
	s_cbranch_execnz .LBB0_6
.LBB0_7:
	s_endpgm
	.section	.rodata,"a",@progbits
	.p2align	6, 0x0
	.amdhsa_kernel _ZN9rocsparseL30csr2ell_strided_batched_kernelILj512EiiiEEvT2_PKT0_lPKT1_PKS1_21rocsparse_index_base_S1_PS1_PS2_lSA_
		.amdhsa_group_segment_fixed_size 0
		.amdhsa_private_segment_fixed_size 0
		.amdhsa_kernarg_size 76
		.amdhsa_user_sgpr_count 6
		.amdhsa_user_sgpr_private_segment_buffer 1
		.amdhsa_user_sgpr_dispatch_ptr 0
		.amdhsa_user_sgpr_queue_ptr 0
		.amdhsa_user_sgpr_kernarg_segment_ptr 1
		.amdhsa_user_sgpr_dispatch_id 0
		.amdhsa_user_sgpr_flat_scratch_init 0
		.amdhsa_user_sgpr_private_segment_size 0
		.amdhsa_uses_dynamic_stack 0
		.amdhsa_system_sgpr_private_segment_wavefront_offset 0
		.amdhsa_system_sgpr_workgroup_id_x 1
		.amdhsa_system_sgpr_workgroup_id_y 1
		.amdhsa_system_sgpr_workgroup_id_z 0
		.amdhsa_system_sgpr_workgroup_info 0
		.amdhsa_system_vgpr_workitem_id 0
		.amdhsa_next_free_vgpr 16
		.amdhsa_next_free_sgpr 22
		.amdhsa_reserve_vcc 1
		.amdhsa_reserve_flat_scratch 0
		.amdhsa_float_round_mode_32 0
		.amdhsa_float_round_mode_16_64 0
		.amdhsa_float_denorm_mode_32 3
		.amdhsa_float_denorm_mode_16_64 3
		.amdhsa_dx10_clamp 1
		.amdhsa_ieee_mode 1
		.amdhsa_fp16_overflow 0
		.amdhsa_exception_fp_ieee_invalid_op 0
		.amdhsa_exception_fp_denorm_src 0
		.amdhsa_exception_fp_ieee_div_zero 0
		.amdhsa_exception_fp_ieee_overflow 0
		.amdhsa_exception_fp_ieee_underflow 0
		.amdhsa_exception_fp_ieee_inexact 0
		.amdhsa_exception_int_div_zero 0
	.end_amdhsa_kernel
	.section	.text._ZN9rocsparseL30csr2ell_strided_batched_kernelILj512EiiiEEvT2_PKT0_lPKT1_PKS1_21rocsparse_index_base_S1_PS1_PS2_lSA_,"axG",@progbits,_ZN9rocsparseL30csr2ell_strided_batched_kernelILj512EiiiEEvT2_PKT0_lPKT1_PKS1_21rocsparse_index_base_S1_PS1_PS2_lSA_,comdat
.Lfunc_end0:
	.size	_ZN9rocsparseL30csr2ell_strided_batched_kernelILj512EiiiEEvT2_PKT0_lPKT1_PKS1_21rocsparse_index_base_S1_PS1_PS2_lSA_, .Lfunc_end0-_ZN9rocsparseL30csr2ell_strided_batched_kernelILj512EiiiEEvT2_PKT0_lPKT1_PKS1_21rocsparse_index_base_S1_PS1_PS2_lSA_
                                        ; -- End function
	.set _ZN9rocsparseL30csr2ell_strided_batched_kernelILj512EiiiEEvT2_PKT0_lPKT1_PKS1_21rocsparse_index_base_S1_PS1_PS2_lSA_.num_vgpr, 16
	.set _ZN9rocsparseL30csr2ell_strided_batched_kernelILj512EiiiEEvT2_PKT0_lPKT1_PKS1_21rocsparse_index_base_S1_PS1_PS2_lSA_.num_agpr, 0
	.set _ZN9rocsparseL30csr2ell_strided_batched_kernelILj512EiiiEEvT2_PKT0_lPKT1_PKS1_21rocsparse_index_base_S1_PS1_PS2_lSA_.numbered_sgpr, 22
	.set _ZN9rocsparseL30csr2ell_strided_batched_kernelILj512EiiiEEvT2_PKT0_lPKT1_PKS1_21rocsparse_index_base_S1_PS1_PS2_lSA_.num_named_barrier, 0
	.set _ZN9rocsparseL30csr2ell_strided_batched_kernelILj512EiiiEEvT2_PKT0_lPKT1_PKS1_21rocsparse_index_base_S1_PS1_PS2_lSA_.private_seg_size, 0
	.set _ZN9rocsparseL30csr2ell_strided_batched_kernelILj512EiiiEEvT2_PKT0_lPKT1_PKS1_21rocsparse_index_base_S1_PS1_PS2_lSA_.uses_vcc, 1
	.set _ZN9rocsparseL30csr2ell_strided_batched_kernelILj512EiiiEEvT2_PKT0_lPKT1_PKS1_21rocsparse_index_base_S1_PS1_PS2_lSA_.uses_flat_scratch, 0
	.set _ZN9rocsparseL30csr2ell_strided_batched_kernelILj512EiiiEEvT2_PKT0_lPKT1_PKS1_21rocsparse_index_base_S1_PS1_PS2_lSA_.has_dyn_sized_stack, 0
	.set _ZN9rocsparseL30csr2ell_strided_batched_kernelILj512EiiiEEvT2_PKT0_lPKT1_PKS1_21rocsparse_index_base_S1_PS1_PS2_lSA_.has_recursion, 0
	.set _ZN9rocsparseL30csr2ell_strided_batched_kernelILj512EiiiEEvT2_PKT0_lPKT1_PKS1_21rocsparse_index_base_S1_PS1_PS2_lSA_.has_indirect_call, 0
	.section	.AMDGPU.csdata,"",@progbits
; Kernel info:
; codeLenInByte = 524
; TotalNumSgprs: 26
; NumVgprs: 16
; ScratchSize: 0
; MemoryBound: 0
; FloatMode: 240
; IeeeMode: 1
; LDSByteSize: 0 bytes/workgroup (compile time only)
; SGPRBlocks: 3
; VGPRBlocks: 3
; NumSGPRsForWavesPerEU: 26
; NumVGPRsForWavesPerEU: 16
; Occupancy: 10
; WaveLimiterHint : 0
; COMPUTE_PGM_RSRC2:SCRATCH_EN: 0
; COMPUTE_PGM_RSRC2:USER_SGPR: 6
; COMPUTE_PGM_RSRC2:TRAP_HANDLER: 0
; COMPUTE_PGM_RSRC2:TGID_X_EN: 1
; COMPUTE_PGM_RSRC2:TGID_Y_EN: 1
; COMPUTE_PGM_RSRC2:TGID_Z_EN: 0
; COMPUTE_PGM_RSRC2:TIDIG_COMP_CNT: 0
	.section	.text._ZN9rocsparseL30csr2ell_strided_batched_kernelILj512EiliEEvT2_PKT0_lPKT1_PKS1_21rocsparse_index_base_S1_PS1_PS2_lSA_,"axG",@progbits,_ZN9rocsparseL30csr2ell_strided_batched_kernelILj512EiliEEvT2_PKT0_lPKT1_PKS1_21rocsparse_index_base_S1_PS1_PS2_lSA_,comdat
	.globl	_ZN9rocsparseL30csr2ell_strided_batched_kernelILj512EiliEEvT2_PKT0_lPKT1_PKS1_21rocsparse_index_base_S1_PS1_PS2_lSA_ ; -- Begin function _ZN9rocsparseL30csr2ell_strided_batched_kernelILj512EiliEEvT2_PKT0_lPKT1_PKS1_21rocsparse_index_base_S1_PS1_PS2_lSA_
	.p2align	8
	.type	_ZN9rocsparseL30csr2ell_strided_batched_kernelILj512EiliEEvT2_PKT0_lPKT1_PKS1_21rocsparse_index_base_S1_PS1_PS2_lSA_,@function
_ZN9rocsparseL30csr2ell_strided_batched_kernelILj512EiliEEvT2_PKT0_lPKT1_PKS1_21rocsparse_index_base_S1_PS1_PS2_lSA_: ; @_ZN9rocsparseL30csr2ell_strided_batched_kernelILj512EiliEEvT2_PKT0_lPKT1_PKS1_21rocsparse_index_base_S1_PS1_PS2_lSA_
; %bb.0:
	s_load_dword s20, s[4:5], 0x0
	s_lshl_b32 s21, s6, 9
	v_or_b32_e32 v5, s21, v0
	s_waitcnt lgkmcnt(0)
	v_cmp_gt_i32_e32 vcc, s20, v5
	s_and_saveexec_b64 s[0:1], vcc
	s_cbranch_execz .LBB1_7
; %bb.1:
	s_load_dwordx8 s[8:15], s[4:5], 0x8
	v_ashrrev_i32_e32 v6, 31, v5
	v_lshlrev_b64 v[1:2], 3, v[5:6]
	s_waitcnt lgkmcnt(0)
	v_mov_b32_e32 v3, s13
	v_add_co_u32_e32 v1, vcc, s12, v1
	v_addc_co_u32_e32 v2, vcc, v3, v2, vcc
	global_load_dwordx4 v[1:4], v[1:2], off
	s_load_dwordx2 s[0:1], s[4:5], 0x40
	s_load_dwordx2 s[2:3], s[4:5], 0x28
	s_load_dwordx4 s[16:19], s[4:5], 0x30
	s_waitcnt lgkmcnt(0)
	s_mul_i32 s1, s1, s7
	s_mul_hi_u32 s6, s0, s7
	s_mul_i32 s0, s0, s7
	s_add_i32 s1, s6, s1
	s_lshl_b64 s[0:1], s[0:1], 2
	s_add_u32 s18, s18, s0
	s_addc_u32 s19, s19, s1
	s_cmp_gt_i32 s3, 0
	s_cselect_b64 s[0:1], -1, 0
	s_waitcnt vmcnt(0)
	v_subrev_co_u32_e32 v2, vcc, s2, v1
	v_subrev_co_u32_e32 v7, vcc, s2, v3
	v_subbrev_co_u32_e32 v8, vcc, 0, v4, vcc
	v_ashrrev_i32_e32 v3, 31, v2
	v_cmp_gt_i64_e32 vcc, v[7:8], v[2:3]
	s_and_b64 s[0:1], s[0:1], vcc
	s_and_saveexec_b64 s[12:13], s[0:1]
	s_cbranch_execz .LBB1_4
; %bb.2:
	s_load_dword s4, s[4:5], 0x48
	s_mul_i32 s0, s11, s7
	s_mul_hi_u32 s1, s10, s7
	s_add_i32 s1, s1, s0
	s_mul_i32 s0, s10, s7
	s_lshl_b64 s[0:1], s[0:1], 2
	v_subrev_u32_e32 v1, s2, v1
	s_add_u32 s8, s8, s0
	v_add_u32_e32 v1, 1, v1
	v_mov_b32_e32 v4, v3
	s_addc_u32 s9, s9, s1
	s_waitcnt lgkmcnt(0)
	s_sub_i32 s10, s4, s2
	v_ashrrev_i32_e32 v9, 31, v1
	s_mov_b64 s[4:5], 0
	s_mov_b64 s[6:7], 0
	v_mov_b32_e32 v3, v2
	v_mov_b32_e32 v10, v2
.LBB1_3:                                ; =>This Inner Loop Header: Depth=1
	v_lshlrev_b64 v[3:4], 2, v[3:4]
	v_mov_b32_e32 v6, s15
	v_add_co_u32_e32 v11, vcc, s14, v3
	v_addc_co_u32_e32 v12, vcc, v6, v4, vcc
	global_load_dword v15, v[11:12], off
	v_ashrrev_i32_e32 v6, 31, v5
	v_mov_b32_e32 v13, s9
	v_lshlrev_b64 v[11:12], 2, v[5:6]
	v_add_co_u32_e32 v3, vcc, s8, v3
	v_addc_co_u32_e32 v4, vcc, v13, v4, vcc
	v_mov_b32_e32 v14, s17
	v_add_co_u32_e32 v13, vcc, s16, v11
	v_addc_co_u32_e32 v14, vcc, v14, v12, vcc
	s_add_u32 s0, s6, 1
	s_addc_u32 s1, s7, 0
	s_cmp_ge_i32 s0, s3
	v_add_u32_e32 v5, s20, v5
	s_waitcnt vmcnt(0)
	v_add_u32_e32 v6, s10, v15
	global_store_dword v[13:14], v6, off
	global_load_dword v6, v[3:4], off
	v_add_u32_e32 v3, 1, v10
	v_mov_b32_e32 v10, s7
	v_add_co_u32_e32 v13, vcc, s6, v1
	v_mov_b32_e32 v15, s19
	v_addc_co_u32_e32 v14, vcc, v9, v10, vcc
	s_mov_b64 s[6:7], s[0:1]
	v_add_co_u32_e64 v11, s[0:1], s18, v11
	v_cmp_le_i64_e32 vcc, v[7:8], v[13:14]
	v_addc_co_u32_e64 v12, s[0:1], v15, v12, s[0:1]
	s_cselect_b64 s[0:1], -1, 0
	s_or_b64 s[0:1], vcc, s[0:1]
	s_and_b64 s[0:1], exec, s[0:1]
	v_ashrrev_i32_e32 v4, 31, v3
	v_mov_b32_e32 v10, v3
	s_or_b64 s[4:5], s[0:1], s[4:5]
	s_waitcnt vmcnt(0)
	global_store_dword v[11:12], v6, off
	s_andn2_b64 exec, exec, s[4:5]
	s_cbranch_execnz .LBB1_3
.LBB1_4:
	s_or_b64 exec, exec, s[12:13]
	v_sub_u32_e32 v2, v7, v2
	v_cmp_gt_i32_e32 vcc, s3, v2
	s_and_b64 exec, exec, vcc
	s_cbranch_execz .LBB1_7
; %bb.5:
	v_mul_lo_u32 v1, s20, v2
	s_mov_b64 s[0:1], 0
	v_mov_b32_e32 v3, s17
	v_mov_b32_e32 v4, -1
	v_add3_u32 v0, v0, v1, s21
	v_mov_b32_e32 v5, s19
	v_mov_b32_e32 v6, 0
.LBB1_6:                                ; =>This Inner Loop Header: Depth=1
	v_ashrrev_i32_e32 v1, 31, v0
	v_lshlrev_b64 v[7:8], 2, v[0:1]
	v_add_u32_e32 v2, 1, v2
	v_add_co_u32_e32 v9, vcc, s16, v7
	v_addc_co_u32_e32 v10, vcc, v3, v8, vcc
	v_add_co_u32_e32 v7, vcc, s18, v7
	v_addc_co_u32_e32 v8, vcc, v5, v8, vcc
	v_cmp_le_i32_e32 vcc, s3, v2
	s_or_b64 s[0:1], vcc, s[0:1]
	v_add_u32_e32 v0, s20, v0
	global_store_dword v[9:10], v4, off
	global_store_dword v[7:8], v6, off
	s_andn2_b64 exec, exec, s[0:1]
	s_cbranch_execnz .LBB1_6
.LBB1_7:
	s_endpgm
	.section	.rodata,"a",@progbits
	.p2align	6, 0x0
	.amdhsa_kernel _ZN9rocsparseL30csr2ell_strided_batched_kernelILj512EiliEEvT2_PKT0_lPKT1_PKS1_21rocsparse_index_base_S1_PS1_PS2_lSA_
		.amdhsa_group_segment_fixed_size 0
		.amdhsa_private_segment_fixed_size 0
		.amdhsa_kernarg_size 76
		.amdhsa_user_sgpr_count 6
		.amdhsa_user_sgpr_private_segment_buffer 1
		.amdhsa_user_sgpr_dispatch_ptr 0
		.amdhsa_user_sgpr_queue_ptr 0
		.amdhsa_user_sgpr_kernarg_segment_ptr 1
		.amdhsa_user_sgpr_dispatch_id 0
		.amdhsa_user_sgpr_flat_scratch_init 0
		.amdhsa_user_sgpr_private_segment_size 0
		.amdhsa_uses_dynamic_stack 0
		.amdhsa_system_sgpr_private_segment_wavefront_offset 0
		.amdhsa_system_sgpr_workgroup_id_x 1
		.amdhsa_system_sgpr_workgroup_id_y 1
		.amdhsa_system_sgpr_workgroup_id_z 0
		.amdhsa_system_sgpr_workgroup_info 0
		.amdhsa_system_vgpr_workitem_id 0
		.amdhsa_next_free_vgpr 16
		.amdhsa_next_free_sgpr 22
		.amdhsa_reserve_vcc 1
		.amdhsa_reserve_flat_scratch 0
		.amdhsa_float_round_mode_32 0
		.amdhsa_float_round_mode_16_64 0
		.amdhsa_float_denorm_mode_32 3
		.amdhsa_float_denorm_mode_16_64 3
		.amdhsa_dx10_clamp 1
		.amdhsa_ieee_mode 1
		.amdhsa_fp16_overflow 0
		.amdhsa_exception_fp_ieee_invalid_op 0
		.amdhsa_exception_fp_denorm_src 0
		.amdhsa_exception_fp_ieee_div_zero 0
		.amdhsa_exception_fp_ieee_overflow 0
		.amdhsa_exception_fp_ieee_underflow 0
		.amdhsa_exception_fp_ieee_inexact 0
		.amdhsa_exception_int_div_zero 0
	.end_amdhsa_kernel
	.section	.text._ZN9rocsparseL30csr2ell_strided_batched_kernelILj512EiliEEvT2_PKT0_lPKT1_PKS1_21rocsparse_index_base_S1_PS1_PS2_lSA_,"axG",@progbits,_ZN9rocsparseL30csr2ell_strided_batched_kernelILj512EiliEEvT2_PKT0_lPKT1_PKS1_21rocsparse_index_base_S1_PS1_PS2_lSA_,comdat
.Lfunc_end1:
	.size	_ZN9rocsparseL30csr2ell_strided_batched_kernelILj512EiliEEvT2_PKT0_lPKT1_PKS1_21rocsparse_index_base_S1_PS1_PS2_lSA_, .Lfunc_end1-_ZN9rocsparseL30csr2ell_strided_batched_kernelILj512EiliEEvT2_PKT0_lPKT1_PKS1_21rocsparse_index_base_S1_PS1_PS2_lSA_
                                        ; -- End function
	.set _ZN9rocsparseL30csr2ell_strided_batched_kernelILj512EiliEEvT2_PKT0_lPKT1_PKS1_21rocsparse_index_base_S1_PS1_PS2_lSA_.num_vgpr, 16
	.set _ZN9rocsparseL30csr2ell_strided_batched_kernelILj512EiliEEvT2_PKT0_lPKT1_PKS1_21rocsparse_index_base_S1_PS1_PS2_lSA_.num_agpr, 0
	.set _ZN9rocsparseL30csr2ell_strided_batched_kernelILj512EiliEEvT2_PKT0_lPKT1_PKS1_21rocsparse_index_base_S1_PS1_PS2_lSA_.numbered_sgpr, 22
	.set _ZN9rocsparseL30csr2ell_strided_batched_kernelILj512EiliEEvT2_PKT0_lPKT1_PKS1_21rocsparse_index_base_S1_PS1_PS2_lSA_.num_named_barrier, 0
	.set _ZN9rocsparseL30csr2ell_strided_batched_kernelILj512EiliEEvT2_PKT0_lPKT1_PKS1_21rocsparse_index_base_S1_PS1_PS2_lSA_.private_seg_size, 0
	.set _ZN9rocsparseL30csr2ell_strided_batched_kernelILj512EiliEEvT2_PKT0_lPKT1_PKS1_21rocsparse_index_base_S1_PS1_PS2_lSA_.uses_vcc, 1
	.set _ZN9rocsparseL30csr2ell_strided_batched_kernelILj512EiliEEvT2_PKT0_lPKT1_PKS1_21rocsparse_index_base_S1_PS1_PS2_lSA_.uses_flat_scratch, 0
	.set _ZN9rocsparseL30csr2ell_strided_batched_kernelILj512EiliEEvT2_PKT0_lPKT1_PKS1_21rocsparse_index_base_S1_PS1_PS2_lSA_.has_dyn_sized_stack, 0
	.set _ZN9rocsparseL30csr2ell_strided_batched_kernelILj512EiliEEvT2_PKT0_lPKT1_PKS1_21rocsparse_index_base_S1_PS1_PS2_lSA_.has_recursion, 0
	.set _ZN9rocsparseL30csr2ell_strided_batched_kernelILj512EiliEEvT2_PKT0_lPKT1_PKS1_21rocsparse_index_base_S1_PS1_PS2_lSA_.has_indirect_call, 0
	.section	.AMDGPU.csdata,"",@progbits
; Kernel info:
; codeLenInByte = 572
; TotalNumSgprs: 26
; NumVgprs: 16
; ScratchSize: 0
; MemoryBound: 0
; FloatMode: 240
; IeeeMode: 1
; LDSByteSize: 0 bytes/workgroup (compile time only)
; SGPRBlocks: 3
; VGPRBlocks: 3
; NumSGPRsForWavesPerEU: 26
; NumVGPRsForWavesPerEU: 16
; Occupancy: 10
; WaveLimiterHint : 0
; COMPUTE_PGM_RSRC2:SCRATCH_EN: 0
; COMPUTE_PGM_RSRC2:USER_SGPR: 6
; COMPUTE_PGM_RSRC2:TRAP_HANDLER: 0
; COMPUTE_PGM_RSRC2:TGID_X_EN: 1
; COMPUTE_PGM_RSRC2:TGID_Y_EN: 1
; COMPUTE_PGM_RSRC2:TGID_Z_EN: 0
; COMPUTE_PGM_RSRC2:TIDIG_COMP_CNT: 0
	.section	.text._ZN9rocsparseL30csr2ell_strided_batched_kernelILj512EiilEEvT2_PKT0_lPKT1_PKS1_21rocsparse_index_base_S1_PS1_PS2_lSA_,"axG",@progbits,_ZN9rocsparseL30csr2ell_strided_batched_kernelILj512EiilEEvT2_PKT0_lPKT1_PKS1_21rocsparse_index_base_S1_PS1_PS2_lSA_,comdat
	.globl	_ZN9rocsparseL30csr2ell_strided_batched_kernelILj512EiilEEvT2_PKT0_lPKT1_PKS1_21rocsparse_index_base_S1_PS1_PS2_lSA_ ; -- Begin function _ZN9rocsparseL30csr2ell_strided_batched_kernelILj512EiilEEvT2_PKT0_lPKT1_PKS1_21rocsparse_index_base_S1_PS1_PS2_lSA_
	.p2align	8
	.type	_ZN9rocsparseL30csr2ell_strided_batched_kernelILj512EiilEEvT2_PKT0_lPKT1_PKS1_21rocsparse_index_base_S1_PS1_PS2_lSA_,@function
_ZN9rocsparseL30csr2ell_strided_batched_kernelILj512EiilEEvT2_PKT0_lPKT1_PKS1_21rocsparse_index_base_S1_PS1_PS2_lSA_: ; @_ZN9rocsparseL30csr2ell_strided_batched_kernelILj512EiilEEvT2_PKT0_lPKT1_PKS1_21rocsparse_index_base_S1_PS1_PS2_lSA_
; %bb.0:
	s_load_dwordx8 s[8:15], s[4:5], 0x0
	s_lshl_b32 s6, s6, 9
	v_or_b32_e32 v1, s6, v0
	v_mov_b32_e32 v2, 0
	s_waitcnt lgkmcnt(0)
	v_cmp_gt_i64_e32 vcc, s[8:9], v[1:2]
	s_and_saveexec_b64 s[0:1], vcc
	s_cbranch_execz .LBB2_7
; %bb.1:
	v_lshlrev_b64 v[2:3], 2, v[1:2]
	v_mov_b32_e32 v4, s15
	v_add_co_u32_e32 v2, vcc, s14, v2
	v_addc_co_u32_e32 v3, vcc, v4, v3, vcc
	global_load_dwordx2 v[4:5], v[2:3], off
	s_load_dwordx8 s[16:23], s[4:5], 0x30
	s_load_dwordx2 s[0:1], s[4:5], 0x20
	s_load_dword s2, s[4:5], 0x28
	s_waitcnt lgkmcnt(0)
	s_mul_i32 s3, s23, s7
	s_mul_hi_u32 s9, s22, s7
	s_mul_i32 s14, s22, s7
	s_add_i32 s15, s9, s3
	v_cmp_gt_i64_e64 s[24:25], s[16:17], 0
	s_lshl_b64 s[14:15], s[14:15], 2
	s_add_u32 s9, s20, s14
	s_addc_u32 s22, s21, s15
	s_mov_b64 s[14:15], 0
	s_waitcnt vmcnt(0)
	v_cmp_lt_i32_e32 vcc, v4, v5
	v_subrev_u32_e32 v3, s2, v4
	v_subrev_u32_e32 v9, s2, v5
	s_and_b64 s[24:25], s[24:25], vcc
	s_and_saveexec_b64 s[20:21], s[24:25]
	s_cbranch_execz .LBB2_4
; %bb.2:
	s_load_dword s3, s[4:5], 0x50
	v_ashrrev_i32_e32 v4, 31, v3
	v_lshlrev_b64 v[5:6], 3, v[3:4]
	v_mov_b32_e32 v2, s1
	v_add_co_u32_e32 v5, vcc, s0, v5
	s_waitcnt lgkmcnt(0)
	s_sub_u32 s23, s3, s2
	s_mul_i32 s0, s13, s7
	s_mul_hi_u32 s1, s12, s7
	s_subb_u32 s24, 0, 0
	s_add_i32 s1, s1, s0
	s_mul_i32 s0, s12, s7
	s_lshl_b64 s[0:1], s[0:1], 2
	v_lshlrev_b64 v[7:8], 2, v[3:4]
	s_add_u32 s0, s10, s0
	v_addc_co_u32_e32 v6, vcc, v2, v6, vcc
	s_addc_u32 s1, s11, s1
	v_mov_b32_e32 v2, s1
	v_add_co_u32_e32 v7, vcc, s0, v7
	v_addc_co_u32_e32 v8, vcc, v2, v8, vcc
	s_mov_b64 s[4:5], 1
.LBB2_3:                                ; =>This Inner Loop Header: Depth=1
	global_load_dwordx2 v[10:11], v[5:6], off
	global_load_dword v4, v[7:8], off
	v_ashrrev_i32_e32 v2, 31, v1
	v_lshlrev_b64 v[12:13], 3, v[1:2]
	v_mov_b32_e32 v14, s19
	v_add_co_u32_e32 v12, vcc, s18, v12
	v_addc_co_u32_e32 v13, vcc, v14, v13, vcc
	v_add_co_u32_e32 v5, vcc, 8, v5
	v_mov_b32_e32 v14, s16
	v_addc_co_u32_e32 v6, vcc, 0, v6, vcc
	v_mov_b32_e32 v15, s17
	v_add_co_u32_e32 v7, vcc, 4, v7
	v_add_u32_e32 v16, s4, v3
	v_addc_co_u32_e32 v8, vcc, 0, v8, vcc
	v_cmp_ge_i64_e64 s[0:1], s[4:5], v[14:15]
	v_cmp_ge_i32_e32 vcc, v16, v9
	s_or_b64 s[0:1], vcc, s[0:1]
	v_lshlrev_b64 v[16:17], 2, v[1:2]
	s_add_u32 s4, s4, 1
	s_addc_u32 s5, s5, 0
	v_mov_b32_e32 v19, s22
	v_add_co_u32_e64 v14, s[2:3], s9, v16
	s_and_b64 s[0:1], exec, s[0:1]
	v_mov_b32_e32 v18, s24
	v_add_u32_e32 v1, s8, v1
	v_addc_co_u32_e64 v15, s[2:3], v19, v17, s[2:3]
	s_or_b64 s[14:15], s[0:1], s[14:15]
	s_waitcnt vmcnt(1)
	v_add_co_u32_e32 v10, vcc, s23, v10
	v_addc_co_u32_e32 v11, vcc, v18, v11, vcc
	s_waitcnt vmcnt(0)
	global_store_dword v[14:15], v4, off
	global_store_dwordx2 v[12:13], v[10:11], off
	s_andn2_b64 exec, exec, s[14:15]
	s_cbranch_execnz .LBB2_3
.LBB2_4:
	s_or_b64 exec, exec, s[20:21]
	v_sub_u32_e32 v1, v9, v3
	v_ashrrev_i32_e32 v2, 31, v1
	v_cmp_gt_i64_e32 vcc, s[16:17], v[1:2]
	s_and_b64 exec, exec, vcc
	s_cbranch_execz .LBB2_7
; %bb.5:
	v_mul_lo_u32 v4, v1, s8
	v_mov_b32_e32 v3, -1
	s_mov_b64 s[0:1], 0
	v_mov_b32_e32 v7, s19
	v_add3_u32 v5, v0, v4, s6
	v_mov_b32_e32 v4, v3
	v_mov_b32_e32 v0, s22
	;; [unrolled: 1-line block ×3, first 2 shown]
.LBB2_6:                                ; =>This Inner Loop Header: Depth=1
	v_ashrrev_i32_e32 v6, 31, v5
	v_lshlrev_b64 v[9:10], 3, v[5:6]
	v_add_co_u32_e32 v9, vcc, s18, v9
	v_addc_co_u32_e32 v10, vcc, v7, v10, vcc
	global_store_dwordx2 v[9:10], v[3:4], off
	v_lshlrev_b64 v[9:10], 2, v[5:6]
	v_add_u32_e32 v5, s8, v5
	v_add_co_u32_e32 v9, vcc, s9, v9
	v_addc_co_u32_e32 v10, vcc, v0, v10, vcc
	v_add_co_u32_e32 v1, vcc, 1, v1
	v_addc_co_u32_e32 v2, vcc, 0, v2, vcc
	v_cmp_le_i64_e32 vcc, s[16:17], v[1:2]
	global_store_dword v[9:10], v8, off
	s_or_b64 s[0:1], vcc, s[0:1]
	s_andn2_b64 exec, exec, s[0:1]
	s_cbranch_execnz .LBB2_6
.LBB2_7:
	s_endpgm
	.section	.rodata,"a",@progbits
	.p2align	6, 0x0
	.amdhsa_kernel _ZN9rocsparseL30csr2ell_strided_batched_kernelILj512EiilEEvT2_PKT0_lPKT1_PKS1_21rocsparse_index_base_S1_PS1_PS2_lSA_
		.amdhsa_group_segment_fixed_size 0
		.amdhsa_private_segment_fixed_size 0
		.amdhsa_kernarg_size 84
		.amdhsa_user_sgpr_count 6
		.amdhsa_user_sgpr_private_segment_buffer 1
		.amdhsa_user_sgpr_dispatch_ptr 0
		.amdhsa_user_sgpr_queue_ptr 0
		.amdhsa_user_sgpr_kernarg_segment_ptr 1
		.amdhsa_user_sgpr_dispatch_id 0
		.amdhsa_user_sgpr_flat_scratch_init 0
		.amdhsa_user_sgpr_private_segment_size 0
		.amdhsa_uses_dynamic_stack 0
		.amdhsa_system_sgpr_private_segment_wavefront_offset 0
		.amdhsa_system_sgpr_workgroup_id_x 1
		.amdhsa_system_sgpr_workgroup_id_y 1
		.amdhsa_system_sgpr_workgroup_id_z 0
		.amdhsa_system_sgpr_workgroup_info 0
		.amdhsa_system_vgpr_workitem_id 0
		.amdhsa_next_free_vgpr 20
		.amdhsa_next_free_sgpr 26
		.amdhsa_reserve_vcc 1
		.amdhsa_reserve_flat_scratch 0
		.amdhsa_float_round_mode_32 0
		.amdhsa_float_round_mode_16_64 0
		.amdhsa_float_denorm_mode_32 3
		.amdhsa_float_denorm_mode_16_64 3
		.amdhsa_dx10_clamp 1
		.amdhsa_ieee_mode 1
		.amdhsa_fp16_overflow 0
		.amdhsa_exception_fp_ieee_invalid_op 0
		.amdhsa_exception_fp_denorm_src 0
		.amdhsa_exception_fp_ieee_div_zero 0
		.amdhsa_exception_fp_ieee_overflow 0
		.amdhsa_exception_fp_ieee_underflow 0
		.amdhsa_exception_fp_ieee_inexact 0
		.amdhsa_exception_int_div_zero 0
	.end_amdhsa_kernel
	.section	.text._ZN9rocsparseL30csr2ell_strided_batched_kernelILj512EiilEEvT2_PKT0_lPKT1_PKS1_21rocsparse_index_base_S1_PS1_PS2_lSA_,"axG",@progbits,_ZN9rocsparseL30csr2ell_strided_batched_kernelILj512EiilEEvT2_PKT0_lPKT1_PKS1_21rocsparse_index_base_S1_PS1_PS2_lSA_,comdat
.Lfunc_end2:
	.size	_ZN9rocsparseL30csr2ell_strided_batched_kernelILj512EiilEEvT2_PKT0_lPKT1_PKS1_21rocsparse_index_base_S1_PS1_PS2_lSA_, .Lfunc_end2-_ZN9rocsparseL30csr2ell_strided_batched_kernelILj512EiilEEvT2_PKT0_lPKT1_PKS1_21rocsparse_index_base_S1_PS1_PS2_lSA_
                                        ; -- End function
	.set _ZN9rocsparseL30csr2ell_strided_batched_kernelILj512EiilEEvT2_PKT0_lPKT1_PKS1_21rocsparse_index_base_S1_PS1_PS2_lSA_.num_vgpr, 20
	.set _ZN9rocsparseL30csr2ell_strided_batched_kernelILj512EiilEEvT2_PKT0_lPKT1_PKS1_21rocsparse_index_base_S1_PS1_PS2_lSA_.num_agpr, 0
	.set _ZN9rocsparseL30csr2ell_strided_batched_kernelILj512EiilEEvT2_PKT0_lPKT1_PKS1_21rocsparse_index_base_S1_PS1_PS2_lSA_.numbered_sgpr, 26
	.set _ZN9rocsparseL30csr2ell_strided_batched_kernelILj512EiilEEvT2_PKT0_lPKT1_PKS1_21rocsparse_index_base_S1_PS1_PS2_lSA_.num_named_barrier, 0
	.set _ZN9rocsparseL30csr2ell_strided_batched_kernelILj512EiilEEvT2_PKT0_lPKT1_PKS1_21rocsparse_index_base_S1_PS1_PS2_lSA_.private_seg_size, 0
	.set _ZN9rocsparseL30csr2ell_strided_batched_kernelILj512EiilEEvT2_PKT0_lPKT1_PKS1_21rocsparse_index_base_S1_PS1_PS2_lSA_.uses_vcc, 1
	.set _ZN9rocsparseL30csr2ell_strided_batched_kernelILj512EiilEEvT2_PKT0_lPKT1_PKS1_21rocsparse_index_base_S1_PS1_PS2_lSA_.uses_flat_scratch, 0
	.set _ZN9rocsparseL30csr2ell_strided_batched_kernelILj512EiilEEvT2_PKT0_lPKT1_PKS1_21rocsparse_index_base_S1_PS1_PS2_lSA_.has_dyn_sized_stack, 0
	.set _ZN9rocsparseL30csr2ell_strided_batched_kernelILj512EiilEEvT2_PKT0_lPKT1_PKS1_21rocsparse_index_base_S1_PS1_PS2_lSA_.has_recursion, 0
	.set _ZN9rocsparseL30csr2ell_strided_batched_kernelILj512EiilEEvT2_PKT0_lPKT1_PKS1_21rocsparse_index_base_S1_PS1_PS2_lSA_.has_indirect_call, 0
	.section	.AMDGPU.csdata,"",@progbits
; Kernel info:
; codeLenInByte = 580
; TotalNumSgprs: 30
; NumVgprs: 20
; ScratchSize: 0
; MemoryBound: 0
; FloatMode: 240
; IeeeMode: 1
; LDSByteSize: 0 bytes/workgroup (compile time only)
; SGPRBlocks: 3
; VGPRBlocks: 4
; NumSGPRsForWavesPerEU: 30
; NumVGPRsForWavesPerEU: 20
; Occupancy: 10
; WaveLimiterHint : 0
; COMPUTE_PGM_RSRC2:SCRATCH_EN: 0
; COMPUTE_PGM_RSRC2:USER_SGPR: 6
; COMPUTE_PGM_RSRC2:TRAP_HANDLER: 0
; COMPUTE_PGM_RSRC2:TGID_X_EN: 1
; COMPUTE_PGM_RSRC2:TGID_Y_EN: 1
; COMPUTE_PGM_RSRC2:TGID_Z_EN: 0
; COMPUTE_PGM_RSRC2:TIDIG_COMP_CNT: 0
	.section	.text._ZN9rocsparseL30csr2ell_strided_batched_kernelILj512EillEEvT2_PKT0_lPKT1_PKS1_21rocsparse_index_base_S1_PS1_PS2_lSA_,"axG",@progbits,_ZN9rocsparseL30csr2ell_strided_batched_kernelILj512EillEEvT2_PKT0_lPKT1_PKS1_21rocsparse_index_base_S1_PS1_PS2_lSA_,comdat
	.globl	_ZN9rocsparseL30csr2ell_strided_batched_kernelILj512EillEEvT2_PKT0_lPKT1_PKS1_21rocsparse_index_base_S1_PS1_PS2_lSA_ ; -- Begin function _ZN9rocsparseL30csr2ell_strided_batched_kernelILj512EillEEvT2_PKT0_lPKT1_PKS1_21rocsparse_index_base_S1_PS1_PS2_lSA_
	.p2align	8
	.type	_ZN9rocsparseL30csr2ell_strided_batched_kernelILj512EillEEvT2_PKT0_lPKT1_PKS1_21rocsparse_index_base_S1_PS1_PS2_lSA_,@function
_ZN9rocsparseL30csr2ell_strided_batched_kernelILj512EillEEvT2_PKT0_lPKT1_PKS1_21rocsparse_index_base_S1_PS1_PS2_lSA_: ; @_ZN9rocsparseL30csr2ell_strided_batched_kernelILj512EillEEvT2_PKT0_lPKT1_PKS1_21rocsparse_index_base_S1_PS1_PS2_lSA_
; %bb.0:
	s_load_dwordx8 s[16:23], s[4:5], 0x0
	v_lshl_or_b32 v4, s6, 9, v0
	v_mov_b32_e32 v5, 0
	s_waitcnt lgkmcnt(0)
	v_cmp_gt_i64_e32 vcc, s[16:17], v[4:5]
	s_and_saveexec_b64 s[0:1], vcc
	s_cbranch_execz .LBB3_7
; %bb.1:
	v_lshlrev_b64 v[6:7], 3, v[4:5]
	v_mov_b32_e32 v1, s23
	v_add_co_u32_e32 v0, vcc, s22, v6
	v_addc_co_u32_e32 v1, vcc, v1, v7, vcc
	global_load_dwordx4 v[0:3], v[0:1], off
	s_load_dwordx8 s[8:15], s[4:5], 0x30
	s_load_dwordx2 s[22:23], s[4:5], 0x20
	s_load_dword s0, s[4:5], 0x28
	s_waitcnt lgkmcnt(0)
	v_cmp_gt_i64_e64 s[24:25], s[8:9], 0
	s_mul_i32 s1, s15, s7
	s_mul_hi_u32 s3, s14, s7
	s_mul_i32 s2, s14, s7
	s_add_i32 s3, s3, s1
	s_mov_b64 s[14:15], 0
	s_waitcnt vmcnt(0)
	v_subrev_co_u32_e32 v8, vcc, s0, v0
	v_subbrev_co_u32_e32 v14, vcc, 0, v1, vcc
	v_subrev_co_u32_e32 v1, vcc, s0, v2
	v_subbrev_co_u32_e32 v2, vcc, 0, v3, vcc
	v_ashrrev_i32_e32 v9, 31, v8
	v_cmp_gt_i64_e32 vcc, v[1:2], v[8:9]
	s_and_b64 s[26:27], s[24:25], vcc
	s_and_saveexec_b64 s[24:25], s[26:27]
	s_cbranch_execz .LBB3_4
; %bb.2:
	s_load_dword s1, s[4:5], 0x50
	s_mul_i32 s4, s21, s7
	s_mul_hi_u32 s5, s20, s7
	s_add_i32 s5, s5, s4
	s_mul_i32 s4, s20, s7
	s_lshl_b64 s[4:5], s[4:5], 2
	s_add_u32 s6, s18, s4
	s_addc_u32 s7, s19, s5
	s_lshl_b64 s[4:5], s[2:3], 2
	s_add_u32 s18, s12, s4
	s_addc_u32 s19, s13, s5
	v_subrev_u32_e32 v0, s0, v0
	s_waitcnt lgkmcnt(0)
	s_sub_u32 s20, s1, s0
	v_add_u32_e32 v0, 1, v0
	v_mov_b32_e32 v13, v9
	s_subb_u32 s21, 0, 0
	v_ashrrev_i32_e32 v3, 31, v0
	s_mov_b64 s[4:5], 1
	v_mov_b32_e32 v10, v4
	v_mov_b32_e32 v12, v8
	;; [unrolled: 1-line block ×3, first 2 shown]
.LBB3_3:                                ; =>This Inner Loop Header: Depth=1
	v_lshlrev_b64 v[15:16], 3, v[12:13]
	v_mov_b32_e32 v11, s23
	v_add_co_u32_e32 v15, vcc, s22, v15
	v_addc_co_u32_e32 v16, vcc, v11, v16, vcc
	global_load_dwordx2 v[15:16], v[15:16], off
	v_mov_b32_e32 v11, s21
	v_mov_b32_e32 v19, s11
	v_lshlrev_b64 v[12:13], 2, v[12:13]
	s_waitcnt vmcnt(0)
	v_add_co_u32_e32 v15, vcc, s20, v15
	v_addc_co_u32_e32 v16, vcc, v11, v16, vcc
	v_ashrrev_i32_e32 v11, 31, v10
	v_lshlrev_b64 v[17:18], 3, v[10:11]
	v_add_co_u32_e32 v17, vcc, s10, v17
	v_addc_co_u32_e32 v18, vcc, v19, v18, vcc
	global_store_dwordx2 v[17:18], v[15:16], off
	v_add_co_u32_e32 v12, vcc, s6, v12
	v_mov_b32_e32 v15, s7
	v_addc_co_u32_e32 v13, vcc, v15, v13, vcc
	global_load_dword v13, v[12:13], off
	v_lshlrev_b64 v[11:12], 2, v[10:11]
	v_mov_b32_e32 v15, s19
	v_add_co_u32_e32 v11, vcc, s18, v11
	v_addc_co_u32_e32 v12, vcc, v15, v12, vcc
	v_add_u32_e32 v10, s16, v10
	s_waitcnt vmcnt(0)
	global_store_dword v[11:12], v13, off
	v_add_u32_e32 v12, 1, v9
	v_add_co_u32_e32 v9, vcc, s4, v0
	v_mov_b32_e32 v11, s5
	v_addc_co_u32_e32 v11, vcc, v3, v11, vcc
	v_add_co_u32_e32 v15, vcc, -1, v9
	v_addc_co_u32_e32 v16, vcc, -1, v11, vcc
	v_cmp_le_i64_e32 vcc, v[1:2], v[15:16]
	v_mov_b32_e32 v16, s9
	v_mov_b32_e32 v15, s8
	v_cmp_ge_i64_e64 s[0:1], s[4:5], v[15:16]
	v_ashrrev_i32_e32 v13, 31, v12
	s_or_b64 s[0:1], vcc, s[0:1]
	s_add_u32 s4, s4, 1
	s_addc_u32 s5, s5, 0
	s_and_b64 s[0:1], exec, s[0:1]
	s_or_b64 s[14:15], s[0:1], s[14:15]
	v_mov_b32_e32 v9, v12
	s_andn2_b64 exec, exec, s[14:15]
	s_cbranch_execnz .LBB3_3
.LBB3_4:
	s_or_b64 exec, exec, s[24:25]
	v_sub_co_u32_e32 v0, vcc, v1, v8
	v_subb_co_u32_e32 v1, vcc, v2, v14, vcc
	v_cmp_gt_i64_e32 vcc, s[8:9], v[0:1]
	s_and_b64 exec, exec, vcc
	s_cbranch_execz .LBB3_7
; %bb.5:
	v_mul_lo_u32 v2, s17, v0
	v_mul_lo_u32 v3, s16, v1
	v_mad_u64_u32 v[8:9], s[0:1], s16, v0, 0
	s_lshl_b64 s[0:1], s[2:3], 2
	v_lshlrev_b64 v[4:5], 2, v[4:5]
	v_add3_u32 v9, v9, v3, v2
	v_lshlrev_b64 v[2:3], 3, v[8:9]
	s_lshl_b64 s[4:5], s[16:17], 3
	v_add_co_u32_e32 v2, vcc, v2, v6
	v_addc_co_u32_e32 v3, vcc, v3, v7, vcc
	v_mov_b32_e32 v6, s11
	v_add_co_u32_e32 v2, vcc, s10, v2
	v_addc_co_u32_e32 v3, vcc, v6, v3, vcc
	v_lshlrev_b64 v[6:7], 2, v[8:9]
	v_mov_b32_e32 v8, s1
	v_add_co_u32_e32 v6, vcc, s0, v6
	v_addc_co_u32_e32 v7, vcc, v7, v8, vcc
	v_add_co_u32_e32 v4, vcc, v6, v4
	v_addc_co_u32_e32 v5, vcc, v7, v5, vcc
	v_mov_b32_e32 v6, s13
	v_add_co_u32_e32 v4, vcc, s12, v4
	v_addc_co_u32_e32 v5, vcc, v6, v5, vcc
	s_lshl_b64 s[6:7], s[16:17], 2
	s_mov_b64 s[10:11], 0
	v_mov_b32_e32 v8, 0
	v_mov_b32_e32 v6, -1
.LBB3_6:                                ; =>This Inner Loop Header: Depth=1
	v_add_co_u32_e32 v0, vcc, 1, v0
	v_addc_co_u32_e32 v1, vcc, 0, v1, vcc
	v_mov_b32_e32 v7, v6
	v_cmp_le_i64_e64 s[0:1], s[8:9], v[0:1]
	global_store_dword v[4:5], v8, off
	v_mov_b32_e32 v9, s5
	v_mov_b32_e32 v10, s7
	v_add_co_u32_e32 v4, vcc, s6, v4
	global_store_dwordx2 v[2:3], v[6:7], off
	v_add_co_u32_e64 v2, s[2:3], s4, v2
	v_addc_co_u32_e64 v3, s[2:3], v3, v9, s[2:3]
	s_or_b64 s[10:11], s[0:1], s[10:11]
	v_addc_co_u32_e32 v5, vcc, v5, v10, vcc
	s_andn2_b64 exec, exec, s[10:11]
	s_cbranch_execnz .LBB3_6
.LBB3_7:
	s_endpgm
	.section	.rodata,"a",@progbits
	.p2align	6, 0x0
	.amdhsa_kernel _ZN9rocsparseL30csr2ell_strided_batched_kernelILj512EillEEvT2_PKT0_lPKT1_PKS1_21rocsparse_index_base_S1_PS1_PS2_lSA_
		.amdhsa_group_segment_fixed_size 0
		.amdhsa_private_segment_fixed_size 0
		.amdhsa_kernarg_size 84
		.amdhsa_user_sgpr_count 6
		.amdhsa_user_sgpr_private_segment_buffer 1
		.amdhsa_user_sgpr_dispatch_ptr 0
		.amdhsa_user_sgpr_queue_ptr 0
		.amdhsa_user_sgpr_kernarg_segment_ptr 1
		.amdhsa_user_sgpr_dispatch_id 0
		.amdhsa_user_sgpr_flat_scratch_init 0
		.amdhsa_user_sgpr_private_segment_size 0
		.amdhsa_uses_dynamic_stack 0
		.amdhsa_system_sgpr_private_segment_wavefront_offset 0
		.amdhsa_system_sgpr_workgroup_id_x 1
		.amdhsa_system_sgpr_workgroup_id_y 1
		.amdhsa_system_sgpr_workgroup_id_z 0
		.amdhsa_system_sgpr_workgroup_info 0
		.amdhsa_system_vgpr_workitem_id 0
		.amdhsa_next_free_vgpr 20
		.amdhsa_next_free_sgpr 28
		.amdhsa_reserve_vcc 1
		.amdhsa_reserve_flat_scratch 0
		.amdhsa_float_round_mode_32 0
		.amdhsa_float_round_mode_16_64 0
		.amdhsa_float_denorm_mode_32 3
		.amdhsa_float_denorm_mode_16_64 3
		.amdhsa_dx10_clamp 1
		.amdhsa_ieee_mode 1
		.amdhsa_fp16_overflow 0
		.amdhsa_exception_fp_ieee_invalid_op 0
		.amdhsa_exception_fp_denorm_src 0
		.amdhsa_exception_fp_ieee_div_zero 0
		.amdhsa_exception_fp_ieee_overflow 0
		.amdhsa_exception_fp_ieee_underflow 0
		.amdhsa_exception_fp_ieee_inexact 0
		.amdhsa_exception_int_div_zero 0
	.end_amdhsa_kernel
	.section	.text._ZN9rocsparseL30csr2ell_strided_batched_kernelILj512EillEEvT2_PKT0_lPKT1_PKS1_21rocsparse_index_base_S1_PS1_PS2_lSA_,"axG",@progbits,_ZN9rocsparseL30csr2ell_strided_batched_kernelILj512EillEEvT2_PKT0_lPKT1_PKS1_21rocsparse_index_base_S1_PS1_PS2_lSA_,comdat
.Lfunc_end3:
	.size	_ZN9rocsparseL30csr2ell_strided_batched_kernelILj512EillEEvT2_PKT0_lPKT1_PKS1_21rocsparse_index_base_S1_PS1_PS2_lSA_, .Lfunc_end3-_ZN9rocsparseL30csr2ell_strided_batched_kernelILj512EillEEvT2_PKT0_lPKT1_PKS1_21rocsparse_index_base_S1_PS1_PS2_lSA_
                                        ; -- End function
	.set _ZN9rocsparseL30csr2ell_strided_batched_kernelILj512EillEEvT2_PKT0_lPKT1_PKS1_21rocsparse_index_base_S1_PS1_PS2_lSA_.num_vgpr, 20
	.set _ZN9rocsparseL30csr2ell_strided_batched_kernelILj512EillEEvT2_PKT0_lPKT1_PKS1_21rocsparse_index_base_S1_PS1_PS2_lSA_.num_agpr, 0
	.set _ZN9rocsparseL30csr2ell_strided_batched_kernelILj512EillEEvT2_PKT0_lPKT1_PKS1_21rocsparse_index_base_S1_PS1_PS2_lSA_.numbered_sgpr, 28
	.set _ZN9rocsparseL30csr2ell_strided_batched_kernelILj512EillEEvT2_PKT0_lPKT1_PKS1_21rocsparse_index_base_S1_PS1_PS2_lSA_.num_named_barrier, 0
	.set _ZN9rocsparseL30csr2ell_strided_batched_kernelILj512EillEEvT2_PKT0_lPKT1_PKS1_21rocsparse_index_base_S1_PS1_PS2_lSA_.private_seg_size, 0
	.set _ZN9rocsparseL30csr2ell_strided_batched_kernelILj512EillEEvT2_PKT0_lPKT1_PKS1_21rocsparse_index_base_S1_PS1_PS2_lSA_.uses_vcc, 1
	.set _ZN9rocsparseL30csr2ell_strided_batched_kernelILj512EillEEvT2_PKT0_lPKT1_PKS1_21rocsparse_index_base_S1_PS1_PS2_lSA_.uses_flat_scratch, 0
	.set _ZN9rocsparseL30csr2ell_strided_batched_kernelILj512EillEEvT2_PKT0_lPKT1_PKS1_21rocsparse_index_base_S1_PS1_PS2_lSA_.has_dyn_sized_stack, 0
	.set _ZN9rocsparseL30csr2ell_strided_batched_kernelILj512EillEEvT2_PKT0_lPKT1_PKS1_21rocsparse_index_base_S1_PS1_PS2_lSA_.has_recursion, 0
	.set _ZN9rocsparseL30csr2ell_strided_batched_kernelILj512EillEEvT2_PKT0_lPKT1_PKS1_21rocsparse_index_base_S1_PS1_PS2_lSA_.has_indirect_call, 0
	.section	.AMDGPU.csdata,"",@progbits
; Kernel info:
; codeLenInByte = 712
; TotalNumSgprs: 32
; NumVgprs: 20
; ScratchSize: 0
; MemoryBound: 0
; FloatMode: 240
; IeeeMode: 1
; LDSByteSize: 0 bytes/workgroup (compile time only)
; SGPRBlocks: 3
; VGPRBlocks: 4
; NumSGPRsForWavesPerEU: 32
; NumVGPRsForWavesPerEU: 20
; Occupancy: 10
; WaveLimiterHint : 0
; COMPUTE_PGM_RSRC2:SCRATCH_EN: 0
; COMPUTE_PGM_RSRC2:USER_SGPR: 6
; COMPUTE_PGM_RSRC2:TRAP_HANDLER: 0
; COMPUTE_PGM_RSRC2:TGID_X_EN: 1
; COMPUTE_PGM_RSRC2:TGID_Y_EN: 1
; COMPUTE_PGM_RSRC2:TGID_Z_EN: 0
; COMPUTE_PGM_RSRC2:TIDIG_COMP_CNT: 0
	.section	.text._ZN9rocsparseL30csr2ell_strided_batched_kernelILj512EfiiEEvT2_PKT0_lPKT1_PKS1_21rocsparse_index_base_S1_PS1_PS2_lSA_,"axG",@progbits,_ZN9rocsparseL30csr2ell_strided_batched_kernelILj512EfiiEEvT2_PKT0_lPKT1_PKS1_21rocsparse_index_base_S1_PS1_PS2_lSA_,comdat
	.globl	_ZN9rocsparseL30csr2ell_strided_batched_kernelILj512EfiiEEvT2_PKT0_lPKT1_PKS1_21rocsparse_index_base_S1_PS1_PS2_lSA_ ; -- Begin function _ZN9rocsparseL30csr2ell_strided_batched_kernelILj512EfiiEEvT2_PKT0_lPKT1_PKS1_21rocsparse_index_base_S1_PS1_PS2_lSA_
	.p2align	8
	.type	_ZN9rocsparseL30csr2ell_strided_batched_kernelILj512EfiiEEvT2_PKT0_lPKT1_PKS1_21rocsparse_index_base_S1_PS1_PS2_lSA_,@function
_ZN9rocsparseL30csr2ell_strided_batched_kernelILj512EfiiEEvT2_PKT0_lPKT1_PKS1_21rocsparse_index_base_S1_PS1_PS2_lSA_: ; @_ZN9rocsparseL30csr2ell_strided_batched_kernelILj512EfiiEEvT2_PKT0_lPKT1_PKS1_21rocsparse_index_base_S1_PS1_PS2_lSA_
; %bb.0:
	s_load_dword s16, s[4:5], 0x0
	s_lshl_b32 s6, s6, 9
	v_or_b32_e32 v1, s6, v0
	s_waitcnt lgkmcnt(0)
	v_cmp_gt_i32_e32 vcc, s16, v1
	s_and_saveexec_b64 s[0:1], vcc
	s_cbranch_execz .LBB4_7
; %bb.1:
	s_load_dwordx8 s[8:15], s[4:5], 0x8
	v_ashrrev_i32_e32 v2, 31, v1
	v_lshlrev_b64 v[2:3], 2, v[1:2]
	s_waitcnt lgkmcnt(0)
	v_mov_b32_e32 v4, s13
	v_add_co_u32_e32 v2, vcc, s12, v2
	v_addc_co_u32_e32 v3, vcc, v4, v3, vcc
	global_load_dwordx2 v[4:5], v[2:3], off
	s_load_dwordx2 s[18:19], s[4:5], 0x40
	s_load_dwordx2 s[12:13], s[4:5], 0x28
	s_load_dwordx4 s[0:3], s[4:5], 0x30
	s_waitcnt lgkmcnt(0)
	s_mul_i32 s17, s19, s7
	s_mul_hi_u32 s19, s18, s7
	s_mul_i32 s18, s18, s7
	s_add_i32 s19, s19, s17
	s_lshl_b64 s[18:19], s[18:19], 2
	s_add_u32 s17, s2, s18
	s_addc_u32 s18, s3, s19
	s_cmp_gt_i32 s13, 0
	s_cselect_b64 s[2:3], -1, 0
	s_waitcnt vmcnt(0)
	v_cmp_lt_i32_e32 vcc, v4, v5
	v_subrev_u32_e32 v3, s12, v4
	v_subrev_u32_e32 v8, s12, v5
	s_and_b64 s[20:21], s[2:3], vcc
	s_and_saveexec_b64 s[2:3], s[20:21]
	s_cbranch_execz .LBB4_4
; %bb.2:
	s_load_dword s4, s[4:5], 0x48
	v_ashrrev_i32_e32 v4, 31, v3
	s_mul_hi_u32 s5, s10, s7
	v_lshlrev_b64 v[6:7], 2, v[3:4]
	v_mov_b32_e32 v2, s15
	s_waitcnt lgkmcnt(0)
	s_sub_i32 s12, s4, s12
	s_mul_i32 s4, s11, s7
	s_add_i32 s5, s5, s4
	s_mul_i32 s4, s10, s7
	s_lshl_b64 s[4:5], s[4:5], 2
	v_add_co_u32_e32 v4, vcc, s14, v6
	s_add_u32 s4, s8, s4
	v_addc_co_u32_e32 v5, vcc, v2, v7, vcc
	s_addc_u32 s5, s9, s5
	v_mov_b32_e32 v2, s5
	v_add_co_u32_e32 v6, vcc, s4, v6
	v_addc_co_u32_e32 v7, vcc, v2, v7, vcc
	s_mov_b32 s7, 1
	s_mov_b64 s[4:5], 0
	v_mov_b32_e32 v9, s1
	v_mov_b32_e32 v10, s18
.LBB4_3:                                ; =>This Inner Loop Header: Depth=1
	global_load_dword v15, v[4:5], off
	global_load_dword v16, v[6:7], off
	v_add_co_u32_e32 v4, vcc, 4, v4
	v_addc_co_u32_e32 v5, vcc, 0, v5, vcc
	v_ashrrev_i32_e32 v2, 31, v1
	v_add_co_u32_e32 v6, vcc, 4, v6
	v_add_u32_e32 v13, s7, v3
	s_cmp_ge_i32 s7, s13
	v_addc_co_u32_e32 v7, vcc, 0, v7, vcc
	v_lshlrev_b64 v[11:12], 2, v[1:2]
	v_cmp_ge_i32_e32 vcc, v13, v8
	s_cselect_b64 s[8:9], -1, 0
	s_or_b64 s[8:9], vcc, s[8:9]
	v_add_co_u32_e32 v13, vcc, s0, v11
	s_add_i32 s7, s7, 1
	v_addc_co_u32_e32 v14, vcc, v9, v12, vcc
	v_add_co_u32_e32 v11, vcc, s17, v11
	s_and_b64 s[8:9], exec, s[8:9]
	v_add_u32_e32 v1, s16, v1
	v_addc_co_u32_e32 v12, vcc, v10, v12, vcc
	s_or_b64 s[4:5], s[8:9], s[4:5]
	s_waitcnt vmcnt(1)
	v_add_u32_e32 v2, s12, v15
	s_waitcnt vmcnt(0)
	global_store_dword v[11:12], v16, off
	global_store_dword v[13:14], v2, off
	s_andn2_b64 exec, exec, s[4:5]
	s_cbranch_execnz .LBB4_3
.LBB4_4:
	s_or_b64 exec, exec, s[2:3]
	v_sub_u32_e32 v2, v8, v3
	v_cmp_gt_i32_e32 vcc, s13, v2
	s_and_b64 exec, exec, vcc
	s_cbranch_execz .LBB4_7
; %bb.5:
	v_mul_lo_u32 v1, s16, v2
	s_mov_b64 s[2:3], 0
	v_mov_b32_e32 v3, s1
	v_mov_b32_e32 v4, -1
	v_add3_u32 v0, v0, v1, s6
	v_mov_b32_e32 v5, s18
	v_mov_b32_e32 v6, 0
.LBB4_6:                                ; =>This Inner Loop Header: Depth=1
	v_ashrrev_i32_e32 v1, 31, v0
	v_lshlrev_b64 v[7:8], 2, v[0:1]
	v_add_u32_e32 v2, 1, v2
	v_add_co_u32_e32 v9, vcc, s0, v7
	v_addc_co_u32_e32 v10, vcc, v3, v8, vcc
	v_add_co_u32_e32 v7, vcc, s17, v7
	v_addc_co_u32_e32 v8, vcc, v5, v8, vcc
	v_cmp_le_i32_e32 vcc, s13, v2
	s_or_b64 s[2:3], vcc, s[2:3]
	v_add_u32_e32 v0, s16, v0
	global_store_dword v[9:10], v4, off
	global_store_dword v[7:8], v6, off
	s_andn2_b64 exec, exec, s[2:3]
	s_cbranch_execnz .LBB4_6
.LBB4_7:
	s_endpgm
	.section	.rodata,"a",@progbits
	.p2align	6, 0x0
	.amdhsa_kernel _ZN9rocsparseL30csr2ell_strided_batched_kernelILj512EfiiEEvT2_PKT0_lPKT1_PKS1_21rocsparse_index_base_S1_PS1_PS2_lSA_
		.amdhsa_group_segment_fixed_size 0
		.amdhsa_private_segment_fixed_size 0
		.amdhsa_kernarg_size 76
		.amdhsa_user_sgpr_count 6
		.amdhsa_user_sgpr_private_segment_buffer 1
		.amdhsa_user_sgpr_dispatch_ptr 0
		.amdhsa_user_sgpr_queue_ptr 0
		.amdhsa_user_sgpr_kernarg_segment_ptr 1
		.amdhsa_user_sgpr_dispatch_id 0
		.amdhsa_user_sgpr_flat_scratch_init 0
		.amdhsa_user_sgpr_private_segment_size 0
		.amdhsa_uses_dynamic_stack 0
		.amdhsa_system_sgpr_private_segment_wavefront_offset 0
		.amdhsa_system_sgpr_workgroup_id_x 1
		.amdhsa_system_sgpr_workgroup_id_y 1
		.amdhsa_system_sgpr_workgroup_id_z 0
		.amdhsa_system_sgpr_workgroup_info 0
		.amdhsa_system_vgpr_workitem_id 0
		.amdhsa_next_free_vgpr 17
		.amdhsa_next_free_sgpr 22
		.amdhsa_reserve_vcc 1
		.amdhsa_reserve_flat_scratch 0
		.amdhsa_float_round_mode_32 0
		.amdhsa_float_round_mode_16_64 0
		.amdhsa_float_denorm_mode_32 3
		.amdhsa_float_denorm_mode_16_64 3
		.amdhsa_dx10_clamp 1
		.amdhsa_ieee_mode 1
		.amdhsa_fp16_overflow 0
		.amdhsa_exception_fp_ieee_invalid_op 0
		.amdhsa_exception_fp_denorm_src 0
		.amdhsa_exception_fp_ieee_div_zero 0
		.amdhsa_exception_fp_ieee_overflow 0
		.amdhsa_exception_fp_ieee_underflow 0
		.amdhsa_exception_fp_ieee_inexact 0
		.amdhsa_exception_int_div_zero 0
	.end_amdhsa_kernel
	.section	.text._ZN9rocsparseL30csr2ell_strided_batched_kernelILj512EfiiEEvT2_PKT0_lPKT1_PKS1_21rocsparse_index_base_S1_PS1_PS2_lSA_,"axG",@progbits,_ZN9rocsparseL30csr2ell_strided_batched_kernelILj512EfiiEEvT2_PKT0_lPKT1_PKS1_21rocsparse_index_base_S1_PS1_PS2_lSA_,comdat
.Lfunc_end4:
	.size	_ZN9rocsparseL30csr2ell_strided_batched_kernelILj512EfiiEEvT2_PKT0_lPKT1_PKS1_21rocsparse_index_base_S1_PS1_PS2_lSA_, .Lfunc_end4-_ZN9rocsparseL30csr2ell_strided_batched_kernelILj512EfiiEEvT2_PKT0_lPKT1_PKS1_21rocsparse_index_base_S1_PS1_PS2_lSA_
                                        ; -- End function
	.set _ZN9rocsparseL30csr2ell_strided_batched_kernelILj512EfiiEEvT2_PKT0_lPKT1_PKS1_21rocsparse_index_base_S1_PS1_PS2_lSA_.num_vgpr, 17
	.set _ZN9rocsparseL30csr2ell_strided_batched_kernelILj512EfiiEEvT2_PKT0_lPKT1_PKS1_21rocsparse_index_base_S1_PS1_PS2_lSA_.num_agpr, 0
	.set _ZN9rocsparseL30csr2ell_strided_batched_kernelILj512EfiiEEvT2_PKT0_lPKT1_PKS1_21rocsparse_index_base_S1_PS1_PS2_lSA_.numbered_sgpr, 22
	.set _ZN9rocsparseL30csr2ell_strided_batched_kernelILj512EfiiEEvT2_PKT0_lPKT1_PKS1_21rocsparse_index_base_S1_PS1_PS2_lSA_.num_named_barrier, 0
	.set _ZN9rocsparseL30csr2ell_strided_batched_kernelILj512EfiiEEvT2_PKT0_lPKT1_PKS1_21rocsparse_index_base_S1_PS1_PS2_lSA_.private_seg_size, 0
	.set _ZN9rocsparseL30csr2ell_strided_batched_kernelILj512EfiiEEvT2_PKT0_lPKT1_PKS1_21rocsparse_index_base_S1_PS1_PS2_lSA_.uses_vcc, 1
	.set _ZN9rocsparseL30csr2ell_strided_batched_kernelILj512EfiiEEvT2_PKT0_lPKT1_PKS1_21rocsparse_index_base_S1_PS1_PS2_lSA_.uses_flat_scratch, 0
	.set _ZN9rocsparseL30csr2ell_strided_batched_kernelILj512EfiiEEvT2_PKT0_lPKT1_PKS1_21rocsparse_index_base_S1_PS1_PS2_lSA_.has_dyn_sized_stack, 0
	.set _ZN9rocsparseL30csr2ell_strided_batched_kernelILj512EfiiEEvT2_PKT0_lPKT1_PKS1_21rocsparse_index_base_S1_PS1_PS2_lSA_.has_recursion, 0
	.set _ZN9rocsparseL30csr2ell_strided_batched_kernelILj512EfiiEEvT2_PKT0_lPKT1_PKS1_21rocsparse_index_base_S1_PS1_PS2_lSA_.has_indirect_call, 0
	.section	.AMDGPU.csdata,"",@progbits
; Kernel info:
; codeLenInByte = 524
; TotalNumSgprs: 26
; NumVgprs: 17
; ScratchSize: 0
; MemoryBound: 0
; FloatMode: 240
; IeeeMode: 1
; LDSByteSize: 0 bytes/workgroup (compile time only)
; SGPRBlocks: 3
; VGPRBlocks: 4
; NumSGPRsForWavesPerEU: 26
; NumVGPRsForWavesPerEU: 17
; Occupancy: 10
; WaveLimiterHint : 0
; COMPUTE_PGM_RSRC2:SCRATCH_EN: 0
; COMPUTE_PGM_RSRC2:USER_SGPR: 6
; COMPUTE_PGM_RSRC2:TRAP_HANDLER: 0
; COMPUTE_PGM_RSRC2:TGID_X_EN: 1
; COMPUTE_PGM_RSRC2:TGID_Y_EN: 1
; COMPUTE_PGM_RSRC2:TGID_Z_EN: 0
; COMPUTE_PGM_RSRC2:TIDIG_COMP_CNT: 0
	.section	.text._ZN9rocsparseL30csr2ell_strided_batched_kernelILj512EfliEEvT2_PKT0_lPKT1_PKS1_21rocsparse_index_base_S1_PS1_PS2_lSA_,"axG",@progbits,_ZN9rocsparseL30csr2ell_strided_batched_kernelILj512EfliEEvT2_PKT0_lPKT1_PKS1_21rocsparse_index_base_S1_PS1_PS2_lSA_,comdat
	.globl	_ZN9rocsparseL30csr2ell_strided_batched_kernelILj512EfliEEvT2_PKT0_lPKT1_PKS1_21rocsparse_index_base_S1_PS1_PS2_lSA_ ; -- Begin function _ZN9rocsparseL30csr2ell_strided_batched_kernelILj512EfliEEvT2_PKT0_lPKT1_PKS1_21rocsparse_index_base_S1_PS1_PS2_lSA_
	.p2align	8
	.type	_ZN9rocsparseL30csr2ell_strided_batched_kernelILj512EfliEEvT2_PKT0_lPKT1_PKS1_21rocsparse_index_base_S1_PS1_PS2_lSA_,@function
_ZN9rocsparseL30csr2ell_strided_batched_kernelILj512EfliEEvT2_PKT0_lPKT1_PKS1_21rocsparse_index_base_S1_PS1_PS2_lSA_: ; @_ZN9rocsparseL30csr2ell_strided_batched_kernelILj512EfliEEvT2_PKT0_lPKT1_PKS1_21rocsparse_index_base_S1_PS1_PS2_lSA_
; %bb.0:
	s_load_dword s20, s[4:5], 0x0
	s_lshl_b32 s21, s6, 9
	v_or_b32_e32 v5, s21, v0
	s_waitcnt lgkmcnt(0)
	v_cmp_gt_i32_e32 vcc, s20, v5
	s_and_saveexec_b64 s[0:1], vcc
	s_cbranch_execz .LBB5_7
; %bb.1:
	s_load_dwordx8 s[8:15], s[4:5], 0x8
	v_ashrrev_i32_e32 v6, 31, v5
	v_lshlrev_b64 v[1:2], 3, v[5:6]
	s_waitcnt lgkmcnt(0)
	v_mov_b32_e32 v3, s13
	v_add_co_u32_e32 v1, vcc, s12, v1
	v_addc_co_u32_e32 v2, vcc, v3, v2, vcc
	global_load_dwordx4 v[1:4], v[1:2], off
	s_load_dwordx2 s[0:1], s[4:5], 0x40
	s_load_dwordx2 s[2:3], s[4:5], 0x28
	s_load_dwordx4 s[16:19], s[4:5], 0x30
	s_waitcnt lgkmcnt(0)
	s_mul_i32 s1, s1, s7
	s_mul_hi_u32 s6, s0, s7
	s_mul_i32 s0, s0, s7
	s_add_i32 s1, s6, s1
	s_lshl_b64 s[0:1], s[0:1], 2
	s_add_u32 s18, s18, s0
	s_addc_u32 s19, s19, s1
	s_cmp_gt_i32 s3, 0
	s_cselect_b64 s[0:1], -1, 0
	s_waitcnt vmcnt(0)
	v_subrev_co_u32_e32 v2, vcc, s2, v1
	v_subrev_co_u32_e32 v7, vcc, s2, v3
	v_subbrev_co_u32_e32 v8, vcc, 0, v4, vcc
	v_ashrrev_i32_e32 v3, 31, v2
	v_cmp_gt_i64_e32 vcc, v[7:8], v[2:3]
	s_and_b64 s[0:1], s[0:1], vcc
	s_and_saveexec_b64 s[12:13], s[0:1]
	s_cbranch_execz .LBB5_4
; %bb.2:
	s_load_dword s4, s[4:5], 0x48
	s_mul_i32 s0, s11, s7
	s_mul_hi_u32 s1, s10, s7
	s_add_i32 s1, s1, s0
	s_mul_i32 s0, s10, s7
	s_lshl_b64 s[0:1], s[0:1], 2
	v_subrev_u32_e32 v1, s2, v1
	s_add_u32 s8, s8, s0
	v_add_u32_e32 v1, 1, v1
	v_mov_b32_e32 v4, v3
	s_addc_u32 s9, s9, s1
	s_waitcnt lgkmcnt(0)
	s_sub_i32 s10, s4, s2
	v_ashrrev_i32_e32 v9, 31, v1
	s_mov_b64 s[4:5], 0
	s_mov_b64 s[6:7], 0
	v_mov_b32_e32 v3, v2
	v_mov_b32_e32 v10, v2
.LBB5_3:                                ; =>This Inner Loop Header: Depth=1
	v_lshlrev_b64 v[3:4], 2, v[3:4]
	v_mov_b32_e32 v6, s15
	v_add_co_u32_e32 v11, vcc, s14, v3
	v_addc_co_u32_e32 v12, vcc, v6, v4, vcc
	v_mov_b32_e32 v13, s9
	v_add_co_u32_e32 v3, vcc, s8, v3
	v_addc_co_u32_e32 v4, vcc, v13, v4, vcc
	global_load_dword v15, v[11:12], off
	global_load_dword v16, v[3:4], off
	v_ashrrev_i32_e32 v6, 31, v5
	s_add_u32 s0, s6, 1
	v_add_u32_e32 v3, 1, v10
	v_mov_b32_e32 v10, s7
	v_add_co_u32_e32 v11, vcc, s6, v1
	v_lshlrev_b64 v[13:14], 2, v[5:6]
	s_addc_u32 s1, s7, 0
	v_addc_co_u32_e32 v12, vcc, v9, v10, vcc
	v_mov_b32_e32 v17, s17
	v_cmp_le_i64_e32 vcc, v[7:8], v[11:12]
	s_cmp_ge_i32 s0, s3
	s_mov_b64 s[6:7], s[0:1]
	v_add_co_u32_e64 v11, s[0:1], s16, v13
	v_addc_co_u32_e64 v12, s[0:1], v17, v14, s[0:1]
	v_mov_b32_e32 v18, s19
	v_add_co_u32_e64 v13, s[0:1], s18, v13
	v_addc_co_u32_e64 v14, s[0:1], v18, v14, s[0:1]
	s_cselect_b64 s[0:1], -1, 0
	s_or_b64 s[0:1], vcc, s[0:1]
	s_and_b64 s[0:1], exec, s[0:1]
	v_ashrrev_i32_e32 v4, 31, v3
	v_add_u32_e32 v5, s20, v5
	v_mov_b32_e32 v10, v3
	s_or_b64 s[4:5], s[0:1], s[4:5]
	s_waitcnt vmcnt(1)
	v_add_u32_e32 v6, s10, v15
	s_waitcnt vmcnt(0)
	global_store_dword v[13:14], v16, off
	global_store_dword v[11:12], v6, off
	s_andn2_b64 exec, exec, s[4:5]
	s_cbranch_execnz .LBB5_3
.LBB5_4:
	s_or_b64 exec, exec, s[12:13]
	v_sub_u32_e32 v2, v7, v2
	v_cmp_gt_i32_e32 vcc, s3, v2
	s_and_b64 exec, exec, vcc
	s_cbranch_execz .LBB5_7
; %bb.5:
	v_mul_lo_u32 v1, s20, v2
	s_mov_b64 s[0:1], 0
	v_mov_b32_e32 v3, s17
	v_mov_b32_e32 v4, -1
	v_add3_u32 v0, v0, v1, s21
	v_mov_b32_e32 v5, s19
	v_mov_b32_e32 v6, 0
.LBB5_6:                                ; =>This Inner Loop Header: Depth=1
	v_ashrrev_i32_e32 v1, 31, v0
	v_lshlrev_b64 v[7:8], 2, v[0:1]
	v_add_u32_e32 v2, 1, v2
	v_add_co_u32_e32 v9, vcc, s16, v7
	v_addc_co_u32_e32 v10, vcc, v3, v8, vcc
	v_add_co_u32_e32 v7, vcc, s18, v7
	v_addc_co_u32_e32 v8, vcc, v5, v8, vcc
	v_cmp_le_i32_e32 vcc, s3, v2
	s_or_b64 s[0:1], vcc, s[0:1]
	v_add_u32_e32 v0, s20, v0
	global_store_dword v[9:10], v4, off
	global_store_dword v[7:8], v6, off
	s_andn2_b64 exec, exec, s[0:1]
	s_cbranch_execnz .LBB5_6
.LBB5_7:
	s_endpgm
	.section	.rodata,"a",@progbits
	.p2align	6, 0x0
	.amdhsa_kernel _ZN9rocsparseL30csr2ell_strided_batched_kernelILj512EfliEEvT2_PKT0_lPKT1_PKS1_21rocsparse_index_base_S1_PS1_PS2_lSA_
		.amdhsa_group_segment_fixed_size 0
		.amdhsa_private_segment_fixed_size 0
		.amdhsa_kernarg_size 76
		.amdhsa_user_sgpr_count 6
		.amdhsa_user_sgpr_private_segment_buffer 1
		.amdhsa_user_sgpr_dispatch_ptr 0
		.amdhsa_user_sgpr_queue_ptr 0
		.amdhsa_user_sgpr_kernarg_segment_ptr 1
		.amdhsa_user_sgpr_dispatch_id 0
		.amdhsa_user_sgpr_flat_scratch_init 0
		.amdhsa_user_sgpr_private_segment_size 0
		.amdhsa_uses_dynamic_stack 0
		.amdhsa_system_sgpr_private_segment_wavefront_offset 0
		.amdhsa_system_sgpr_workgroup_id_x 1
		.amdhsa_system_sgpr_workgroup_id_y 1
		.amdhsa_system_sgpr_workgroup_id_z 0
		.amdhsa_system_sgpr_workgroup_info 0
		.amdhsa_system_vgpr_workitem_id 0
		.amdhsa_next_free_vgpr 19
		.amdhsa_next_free_sgpr 22
		.amdhsa_reserve_vcc 1
		.amdhsa_reserve_flat_scratch 0
		.amdhsa_float_round_mode_32 0
		.amdhsa_float_round_mode_16_64 0
		.amdhsa_float_denorm_mode_32 3
		.amdhsa_float_denorm_mode_16_64 3
		.amdhsa_dx10_clamp 1
		.amdhsa_ieee_mode 1
		.amdhsa_fp16_overflow 0
		.amdhsa_exception_fp_ieee_invalid_op 0
		.amdhsa_exception_fp_denorm_src 0
		.amdhsa_exception_fp_ieee_div_zero 0
		.amdhsa_exception_fp_ieee_overflow 0
		.amdhsa_exception_fp_ieee_underflow 0
		.amdhsa_exception_fp_ieee_inexact 0
		.amdhsa_exception_int_div_zero 0
	.end_amdhsa_kernel
	.section	.text._ZN9rocsparseL30csr2ell_strided_batched_kernelILj512EfliEEvT2_PKT0_lPKT1_PKS1_21rocsparse_index_base_S1_PS1_PS2_lSA_,"axG",@progbits,_ZN9rocsparseL30csr2ell_strided_batched_kernelILj512EfliEEvT2_PKT0_lPKT1_PKS1_21rocsparse_index_base_S1_PS1_PS2_lSA_,comdat
.Lfunc_end5:
	.size	_ZN9rocsparseL30csr2ell_strided_batched_kernelILj512EfliEEvT2_PKT0_lPKT1_PKS1_21rocsparse_index_base_S1_PS1_PS2_lSA_, .Lfunc_end5-_ZN9rocsparseL30csr2ell_strided_batched_kernelILj512EfliEEvT2_PKT0_lPKT1_PKS1_21rocsparse_index_base_S1_PS1_PS2_lSA_
                                        ; -- End function
	.set _ZN9rocsparseL30csr2ell_strided_batched_kernelILj512EfliEEvT2_PKT0_lPKT1_PKS1_21rocsparse_index_base_S1_PS1_PS2_lSA_.num_vgpr, 19
	.set _ZN9rocsparseL30csr2ell_strided_batched_kernelILj512EfliEEvT2_PKT0_lPKT1_PKS1_21rocsparse_index_base_S1_PS1_PS2_lSA_.num_agpr, 0
	.set _ZN9rocsparseL30csr2ell_strided_batched_kernelILj512EfliEEvT2_PKT0_lPKT1_PKS1_21rocsparse_index_base_S1_PS1_PS2_lSA_.numbered_sgpr, 22
	.set _ZN9rocsparseL30csr2ell_strided_batched_kernelILj512EfliEEvT2_PKT0_lPKT1_PKS1_21rocsparse_index_base_S1_PS1_PS2_lSA_.num_named_barrier, 0
	.set _ZN9rocsparseL30csr2ell_strided_batched_kernelILj512EfliEEvT2_PKT0_lPKT1_PKS1_21rocsparse_index_base_S1_PS1_PS2_lSA_.private_seg_size, 0
	.set _ZN9rocsparseL30csr2ell_strided_batched_kernelILj512EfliEEvT2_PKT0_lPKT1_PKS1_21rocsparse_index_base_S1_PS1_PS2_lSA_.uses_vcc, 1
	.set _ZN9rocsparseL30csr2ell_strided_batched_kernelILj512EfliEEvT2_PKT0_lPKT1_PKS1_21rocsparse_index_base_S1_PS1_PS2_lSA_.uses_flat_scratch, 0
	.set _ZN9rocsparseL30csr2ell_strided_batched_kernelILj512EfliEEvT2_PKT0_lPKT1_PKS1_21rocsparse_index_base_S1_PS1_PS2_lSA_.has_dyn_sized_stack, 0
	.set _ZN9rocsparseL30csr2ell_strided_batched_kernelILj512EfliEEvT2_PKT0_lPKT1_PKS1_21rocsparse_index_base_S1_PS1_PS2_lSA_.has_recursion, 0
	.set _ZN9rocsparseL30csr2ell_strided_batched_kernelILj512EfliEEvT2_PKT0_lPKT1_PKS1_21rocsparse_index_base_S1_PS1_PS2_lSA_.has_indirect_call, 0
	.section	.AMDGPU.csdata,"",@progbits
; Kernel info:
; codeLenInByte = 580
; TotalNumSgprs: 26
; NumVgprs: 19
; ScratchSize: 0
; MemoryBound: 0
; FloatMode: 240
; IeeeMode: 1
; LDSByteSize: 0 bytes/workgroup (compile time only)
; SGPRBlocks: 3
; VGPRBlocks: 4
; NumSGPRsForWavesPerEU: 26
; NumVGPRsForWavesPerEU: 19
; Occupancy: 10
; WaveLimiterHint : 0
; COMPUTE_PGM_RSRC2:SCRATCH_EN: 0
; COMPUTE_PGM_RSRC2:USER_SGPR: 6
; COMPUTE_PGM_RSRC2:TRAP_HANDLER: 0
; COMPUTE_PGM_RSRC2:TGID_X_EN: 1
; COMPUTE_PGM_RSRC2:TGID_Y_EN: 1
; COMPUTE_PGM_RSRC2:TGID_Z_EN: 0
; COMPUTE_PGM_RSRC2:TIDIG_COMP_CNT: 0
	.section	.text._ZN9rocsparseL30csr2ell_strided_batched_kernelILj512EfilEEvT2_PKT0_lPKT1_PKS1_21rocsparse_index_base_S1_PS1_PS2_lSA_,"axG",@progbits,_ZN9rocsparseL30csr2ell_strided_batched_kernelILj512EfilEEvT2_PKT0_lPKT1_PKS1_21rocsparse_index_base_S1_PS1_PS2_lSA_,comdat
	.globl	_ZN9rocsparseL30csr2ell_strided_batched_kernelILj512EfilEEvT2_PKT0_lPKT1_PKS1_21rocsparse_index_base_S1_PS1_PS2_lSA_ ; -- Begin function _ZN9rocsparseL30csr2ell_strided_batched_kernelILj512EfilEEvT2_PKT0_lPKT1_PKS1_21rocsparse_index_base_S1_PS1_PS2_lSA_
	.p2align	8
	.type	_ZN9rocsparseL30csr2ell_strided_batched_kernelILj512EfilEEvT2_PKT0_lPKT1_PKS1_21rocsparse_index_base_S1_PS1_PS2_lSA_,@function
_ZN9rocsparseL30csr2ell_strided_batched_kernelILj512EfilEEvT2_PKT0_lPKT1_PKS1_21rocsparse_index_base_S1_PS1_PS2_lSA_: ; @_ZN9rocsparseL30csr2ell_strided_batched_kernelILj512EfilEEvT2_PKT0_lPKT1_PKS1_21rocsparse_index_base_S1_PS1_PS2_lSA_
; %bb.0:
	s_load_dwordx8 s[8:15], s[4:5], 0x0
	s_lshl_b32 s6, s6, 9
	v_or_b32_e32 v1, s6, v0
	v_mov_b32_e32 v2, 0
	s_waitcnt lgkmcnt(0)
	v_cmp_gt_i64_e32 vcc, s[8:9], v[1:2]
	s_and_saveexec_b64 s[0:1], vcc
	s_cbranch_execz .LBB6_7
; %bb.1:
	v_lshlrev_b64 v[2:3], 2, v[1:2]
	v_mov_b32_e32 v4, s15
	v_add_co_u32_e32 v2, vcc, s14, v2
	v_addc_co_u32_e32 v3, vcc, v4, v3, vcc
	global_load_dwordx2 v[4:5], v[2:3], off
	s_load_dwordx8 s[16:23], s[4:5], 0x30
	s_load_dwordx2 s[0:1], s[4:5], 0x20
	s_load_dword s2, s[4:5], 0x28
	s_waitcnt lgkmcnt(0)
	s_mul_i32 s3, s23, s7
	s_mul_hi_u32 s9, s22, s7
	s_mul_i32 s14, s22, s7
	s_add_i32 s15, s9, s3
	v_cmp_gt_i64_e64 s[24:25], s[16:17], 0
	s_lshl_b64 s[14:15], s[14:15], 2
	s_add_u32 s9, s20, s14
	s_addc_u32 s22, s21, s15
	s_mov_b64 s[14:15], 0
	s_waitcnt vmcnt(0)
	v_cmp_lt_i32_e32 vcc, v4, v5
	v_subrev_u32_e32 v3, s2, v4
	v_subrev_u32_e32 v9, s2, v5
	s_and_b64 s[24:25], s[24:25], vcc
	s_and_saveexec_b64 s[20:21], s[24:25]
	s_cbranch_execz .LBB6_4
; %bb.2:
	s_load_dword s3, s[4:5], 0x50
	v_ashrrev_i32_e32 v4, 31, v3
	v_lshlrev_b64 v[5:6], 3, v[3:4]
	v_mov_b32_e32 v2, s1
	v_add_co_u32_e32 v5, vcc, s0, v5
	s_waitcnt lgkmcnt(0)
	s_sub_u32 s23, s3, s2
	s_mul_i32 s0, s13, s7
	s_mul_hi_u32 s1, s12, s7
	s_subb_u32 s24, 0, 0
	s_add_i32 s1, s1, s0
	s_mul_i32 s0, s12, s7
	s_lshl_b64 s[0:1], s[0:1], 2
	v_lshlrev_b64 v[7:8], 2, v[3:4]
	s_add_u32 s0, s10, s0
	v_addc_co_u32_e32 v6, vcc, v2, v6, vcc
	s_addc_u32 s1, s11, s1
	v_mov_b32_e32 v2, s1
	v_add_co_u32_e32 v7, vcc, s0, v7
	v_addc_co_u32_e32 v8, vcc, v2, v8, vcc
	s_mov_b64 s[4:5], 1
.LBB6_3:                                ; =>This Inner Loop Header: Depth=1
	global_load_dwordx2 v[10:11], v[5:6], off
	global_load_dword v4, v[7:8], off
	v_ashrrev_i32_e32 v2, 31, v1
	v_lshlrev_b64 v[12:13], 3, v[1:2]
	v_mov_b32_e32 v14, s19
	v_add_co_u32_e32 v12, vcc, s18, v12
	v_addc_co_u32_e32 v13, vcc, v14, v13, vcc
	v_add_co_u32_e32 v5, vcc, 8, v5
	v_mov_b32_e32 v14, s16
	v_addc_co_u32_e32 v6, vcc, 0, v6, vcc
	v_mov_b32_e32 v15, s17
	v_add_co_u32_e32 v7, vcc, 4, v7
	v_add_u32_e32 v16, s4, v3
	v_addc_co_u32_e32 v8, vcc, 0, v8, vcc
	v_cmp_ge_i64_e64 s[0:1], s[4:5], v[14:15]
	v_cmp_ge_i32_e32 vcc, v16, v9
	s_or_b64 s[0:1], vcc, s[0:1]
	v_lshlrev_b64 v[16:17], 2, v[1:2]
	s_add_u32 s4, s4, 1
	s_addc_u32 s5, s5, 0
	v_mov_b32_e32 v19, s22
	v_add_co_u32_e64 v14, s[2:3], s9, v16
	s_and_b64 s[0:1], exec, s[0:1]
	v_mov_b32_e32 v18, s24
	v_add_u32_e32 v1, s8, v1
	v_addc_co_u32_e64 v15, s[2:3], v19, v17, s[2:3]
	s_or_b64 s[14:15], s[0:1], s[14:15]
	s_waitcnt vmcnt(1)
	v_add_co_u32_e32 v10, vcc, s23, v10
	v_addc_co_u32_e32 v11, vcc, v18, v11, vcc
	s_waitcnt vmcnt(0)
	global_store_dword v[14:15], v4, off
	global_store_dwordx2 v[12:13], v[10:11], off
	s_andn2_b64 exec, exec, s[14:15]
	s_cbranch_execnz .LBB6_3
.LBB6_4:
	s_or_b64 exec, exec, s[20:21]
	v_sub_u32_e32 v1, v9, v3
	v_ashrrev_i32_e32 v2, 31, v1
	v_cmp_gt_i64_e32 vcc, s[16:17], v[1:2]
	s_and_b64 exec, exec, vcc
	s_cbranch_execz .LBB6_7
; %bb.5:
	v_mul_lo_u32 v4, v1, s8
	v_mov_b32_e32 v3, -1
	s_mov_b64 s[0:1], 0
	v_mov_b32_e32 v7, s19
	v_add3_u32 v5, v0, v4, s6
	v_mov_b32_e32 v4, v3
	v_mov_b32_e32 v0, s22
	v_mov_b32_e32 v8, 0
.LBB6_6:                                ; =>This Inner Loop Header: Depth=1
	v_ashrrev_i32_e32 v6, 31, v5
	v_lshlrev_b64 v[9:10], 3, v[5:6]
	v_add_co_u32_e32 v9, vcc, s18, v9
	v_addc_co_u32_e32 v10, vcc, v7, v10, vcc
	global_store_dwordx2 v[9:10], v[3:4], off
	v_lshlrev_b64 v[9:10], 2, v[5:6]
	v_add_u32_e32 v5, s8, v5
	v_add_co_u32_e32 v9, vcc, s9, v9
	v_addc_co_u32_e32 v10, vcc, v0, v10, vcc
	v_add_co_u32_e32 v1, vcc, 1, v1
	v_addc_co_u32_e32 v2, vcc, 0, v2, vcc
	v_cmp_le_i64_e32 vcc, s[16:17], v[1:2]
	global_store_dword v[9:10], v8, off
	s_or_b64 s[0:1], vcc, s[0:1]
	s_andn2_b64 exec, exec, s[0:1]
	s_cbranch_execnz .LBB6_6
.LBB6_7:
	s_endpgm
	.section	.rodata,"a",@progbits
	.p2align	6, 0x0
	.amdhsa_kernel _ZN9rocsparseL30csr2ell_strided_batched_kernelILj512EfilEEvT2_PKT0_lPKT1_PKS1_21rocsparse_index_base_S1_PS1_PS2_lSA_
		.amdhsa_group_segment_fixed_size 0
		.amdhsa_private_segment_fixed_size 0
		.amdhsa_kernarg_size 84
		.amdhsa_user_sgpr_count 6
		.amdhsa_user_sgpr_private_segment_buffer 1
		.amdhsa_user_sgpr_dispatch_ptr 0
		.amdhsa_user_sgpr_queue_ptr 0
		.amdhsa_user_sgpr_kernarg_segment_ptr 1
		.amdhsa_user_sgpr_dispatch_id 0
		.amdhsa_user_sgpr_flat_scratch_init 0
		.amdhsa_user_sgpr_private_segment_size 0
		.amdhsa_uses_dynamic_stack 0
		.amdhsa_system_sgpr_private_segment_wavefront_offset 0
		.amdhsa_system_sgpr_workgroup_id_x 1
		.amdhsa_system_sgpr_workgroup_id_y 1
		.amdhsa_system_sgpr_workgroup_id_z 0
		.amdhsa_system_sgpr_workgroup_info 0
		.amdhsa_system_vgpr_workitem_id 0
		.amdhsa_next_free_vgpr 20
		.amdhsa_next_free_sgpr 26
		.amdhsa_reserve_vcc 1
		.amdhsa_reserve_flat_scratch 0
		.amdhsa_float_round_mode_32 0
		.amdhsa_float_round_mode_16_64 0
		.amdhsa_float_denorm_mode_32 3
		.amdhsa_float_denorm_mode_16_64 3
		.amdhsa_dx10_clamp 1
		.amdhsa_ieee_mode 1
		.amdhsa_fp16_overflow 0
		.amdhsa_exception_fp_ieee_invalid_op 0
		.amdhsa_exception_fp_denorm_src 0
		.amdhsa_exception_fp_ieee_div_zero 0
		.amdhsa_exception_fp_ieee_overflow 0
		.amdhsa_exception_fp_ieee_underflow 0
		.amdhsa_exception_fp_ieee_inexact 0
		.amdhsa_exception_int_div_zero 0
	.end_amdhsa_kernel
	.section	.text._ZN9rocsparseL30csr2ell_strided_batched_kernelILj512EfilEEvT2_PKT0_lPKT1_PKS1_21rocsparse_index_base_S1_PS1_PS2_lSA_,"axG",@progbits,_ZN9rocsparseL30csr2ell_strided_batched_kernelILj512EfilEEvT2_PKT0_lPKT1_PKS1_21rocsparse_index_base_S1_PS1_PS2_lSA_,comdat
.Lfunc_end6:
	.size	_ZN9rocsparseL30csr2ell_strided_batched_kernelILj512EfilEEvT2_PKT0_lPKT1_PKS1_21rocsparse_index_base_S1_PS1_PS2_lSA_, .Lfunc_end6-_ZN9rocsparseL30csr2ell_strided_batched_kernelILj512EfilEEvT2_PKT0_lPKT1_PKS1_21rocsparse_index_base_S1_PS1_PS2_lSA_
                                        ; -- End function
	.set _ZN9rocsparseL30csr2ell_strided_batched_kernelILj512EfilEEvT2_PKT0_lPKT1_PKS1_21rocsparse_index_base_S1_PS1_PS2_lSA_.num_vgpr, 20
	.set _ZN9rocsparseL30csr2ell_strided_batched_kernelILj512EfilEEvT2_PKT0_lPKT1_PKS1_21rocsparse_index_base_S1_PS1_PS2_lSA_.num_agpr, 0
	.set _ZN9rocsparseL30csr2ell_strided_batched_kernelILj512EfilEEvT2_PKT0_lPKT1_PKS1_21rocsparse_index_base_S1_PS1_PS2_lSA_.numbered_sgpr, 26
	.set _ZN9rocsparseL30csr2ell_strided_batched_kernelILj512EfilEEvT2_PKT0_lPKT1_PKS1_21rocsparse_index_base_S1_PS1_PS2_lSA_.num_named_barrier, 0
	.set _ZN9rocsparseL30csr2ell_strided_batched_kernelILj512EfilEEvT2_PKT0_lPKT1_PKS1_21rocsparse_index_base_S1_PS1_PS2_lSA_.private_seg_size, 0
	.set _ZN9rocsparseL30csr2ell_strided_batched_kernelILj512EfilEEvT2_PKT0_lPKT1_PKS1_21rocsparse_index_base_S1_PS1_PS2_lSA_.uses_vcc, 1
	.set _ZN9rocsparseL30csr2ell_strided_batched_kernelILj512EfilEEvT2_PKT0_lPKT1_PKS1_21rocsparse_index_base_S1_PS1_PS2_lSA_.uses_flat_scratch, 0
	.set _ZN9rocsparseL30csr2ell_strided_batched_kernelILj512EfilEEvT2_PKT0_lPKT1_PKS1_21rocsparse_index_base_S1_PS1_PS2_lSA_.has_dyn_sized_stack, 0
	.set _ZN9rocsparseL30csr2ell_strided_batched_kernelILj512EfilEEvT2_PKT0_lPKT1_PKS1_21rocsparse_index_base_S1_PS1_PS2_lSA_.has_recursion, 0
	.set _ZN9rocsparseL30csr2ell_strided_batched_kernelILj512EfilEEvT2_PKT0_lPKT1_PKS1_21rocsparse_index_base_S1_PS1_PS2_lSA_.has_indirect_call, 0
	.section	.AMDGPU.csdata,"",@progbits
; Kernel info:
; codeLenInByte = 580
; TotalNumSgprs: 30
; NumVgprs: 20
; ScratchSize: 0
; MemoryBound: 0
; FloatMode: 240
; IeeeMode: 1
; LDSByteSize: 0 bytes/workgroup (compile time only)
; SGPRBlocks: 3
; VGPRBlocks: 4
; NumSGPRsForWavesPerEU: 30
; NumVGPRsForWavesPerEU: 20
; Occupancy: 10
; WaveLimiterHint : 0
; COMPUTE_PGM_RSRC2:SCRATCH_EN: 0
; COMPUTE_PGM_RSRC2:USER_SGPR: 6
; COMPUTE_PGM_RSRC2:TRAP_HANDLER: 0
; COMPUTE_PGM_RSRC2:TGID_X_EN: 1
; COMPUTE_PGM_RSRC2:TGID_Y_EN: 1
; COMPUTE_PGM_RSRC2:TGID_Z_EN: 0
; COMPUTE_PGM_RSRC2:TIDIG_COMP_CNT: 0
	.section	.text._ZN9rocsparseL30csr2ell_strided_batched_kernelILj512EfllEEvT2_PKT0_lPKT1_PKS1_21rocsparse_index_base_S1_PS1_PS2_lSA_,"axG",@progbits,_ZN9rocsparseL30csr2ell_strided_batched_kernelILj512EfllEEvT2_PKT0_lPKT1_PKS1_21rocsparse_index_base_S1_PS1_PS2_lSA_,comdat
	.globl	_ZN9rocsparseL30csr2ell_strided_batched_kernelILj512EfllEEvT2_PKT0_lPKT1_PKS1_21rocsparse_index_base_S1_PS1_PS2_lSA_ ; -- Begin function _ZN9rocsparseL30csr2ell_strided_batched_kernelILj512EfllEEvT2_PKT0_lPKT1_PKS1_21rocsparse_index_base_S1_PS1_PS2_lSA_
	.p2align	8
	.type	_ZN9rocsparseL30csr2ell_strided_batched_kernelILj512EfllEEvT2_PKT0_lPKT1_PKS1_21rocsparse_index_base_S1_PS1_PS2_lSA_,@function
_ZN9rocsparseL30csr2ell_strided_batched_kernelILj512EfllEEvT2_PKT0_lPKT1_PKS1_21rocsparse_index_base_S1_PS1_PS2_lSA_: ; @_ZN9rocsparseL30csr2ell_strided_batched_kernelILj512EfllEEvT2_PKT0_lPKT1_PKS1_21rocsparse_index_base_S1_PS1_PS2_lSA_
; %bb.0:
	s_load_dwordx8 s[16:23], s[4:5], 0x0
	v_lshl_or_b32 v4, s6, 9, v0
	v_mov_b32_e32 v5, 0
	s_waitcnt lgkmcnt(0)
	v_cmp_gt_i64_e32 vcc, s[16:17], v[4:5]
	s_and_saveexec_b64 s[0:1], vcc
	s_cbranch_execz .LBB7_7
; %bb.1:
	v_lshlrev_b64 v[6:7], 3, v[4:5]
	v_mov_b32_e32 v1, s23
	v_add_co_u32_e32 v0, vcc, s22, v6
	v_addc_co_u32_e32 v1, vcc, v1, v7, vcc
	global_load_dwordx4 v[0:3], v[0:1], off
	s_load_dwordx8 s[8:15], s[4:5], 0x30
	s_load_dwordx2 s[22:23], s[4:5], 0x20
	s_load_dword s0, s[4:5], 0x28
	s_waitcnt lgkmcnt(0)
	v_cmp_gt_i64_e64 s[24:25], s[8:9], 0
	s_mul_i32 s1, s15, s7
	s_mul_hi_u32 s3, s14, s7
	s_mul_i32 s2, s14, s7
	s_add_i32 s3, s3, s1
	s_mov_b64 s[14:15], 0
	s_waitcnt vmcnt(0)
	v_subrev_co_u32_e32 v8, vcc, s0, v0
	v_subbrev_co_u32_e32 v14, vcc, 0, v1, vcc
	v_subrev_co_u32_e32 v1, vcc, s0, v2
	v_subbrev_co_u32_e32 v2, vcc, 0, v3, vcc
	v_ashrrev_i32_e32 v9, 31, v8
	v_cmp_gt_i64_e32 vcc, v[1:2], v[8:9]
	s_and_b64 s[26:27], s[24:25], vcc
	s_and_saveexec_b64 s[24:25], s[26:27]
	s_cbranch_execz .LBB7_4
; %bb.2:
	s_load_dword s1, s[4:5], 0x50
	s_mul_i32 s4, s21, s7
	s_mul_hi_u32 s5, s20, s7
	s_add_i32 s5, s5, s4
	s_mul_i32 s4, s20, s7
	s_lshl_b64 s[4:5], s[4:5], 2
	s_add_u32 s6, s18, s4
	s_addc_u32 s7, s19, s5
	s_lshl_b64 s[4:5], s[2:3], 2
	s_add_u32 s18, s12, s4
	s_addc_u32 s19, s13, s5
	v_subrev_u32_e32 v0, s0, v0
	s_waitcnt lgkmcnt(0)
	s_sub_u32 s20, s1, s0
	v_add_u32_e32 v0, 1, v0
	v_mov_b32_e32 v13, v9
	s_subb_u32 s21, 0, 0
	v_ashrrev_i32_e32 v3, 31, v0
	s_mov_b64 s[4:5], 1
	v_mov_b32_e32 v10, v4
	v_mov_b32_e32 v12, v8
	;; [unrolled: 1-line block ×3, first 2 shown]
.LBB7_3:                                ; =>This Inner Loop Header: Depth=1
	v_lshlrev_b64 v[15:16], 3, v[12:13]
	v_mov_b32_e32 v11, s23
	v_add_co_u32_e32 v15, vcc, s22, v15
	v_addc_co_u32_e32 v16, vcc, v11, v16, vcc
	global_load_dwordx2 v[15:16], v[15:16], off
	v_mov_b32_e32 v11, s21
	v_mov_b32_e32 v19, s11
	v_lshlrev_b64 v[12:13], 2, v[12:13]
	s_waitcnt vmcnt(0)
	v_add_co_u32_e32 v15, vcc, s20, v15
	v_addc_co_u32_e32 v16, vcc, v11, v16, vcc
	v_ashrrev_i32_e32 v11, 31, v10
	v_lshlrev_b64 v[17:18], 3, v[10:11]
	v_add_co_u32_e32 v17, vcc, s10, v17
	v_addc_co_u32_e32 v18, vcc, v19, v18, vcc
	global_store_dwordx2 v[17:18], v[15:16], off
	v_add_co_u32_e32 v12, vcc, s6, v12
	v_mov_b32_e32 v15, s7
	v_addc_co_u32_e32 v13, vcc, v15, v13, vcc
	global_load_dword v13, v[12:13], off
	v_lshlrev_b64 v[11:12], 2, v[10:11]
	v_mov_b32_e32 v15, s19
	v_add_co_u32_e32 v11, vcc, s18, v11
	v_addc_co_u32_e32 v12, vcc, v15, v12, vcc
	v_add_u32_e32 v10, s16, v10
	s_waitcnt vmcnt(0)
	global_store_dword v[11:12], v13, off
	v_add_u32_e32 v12, 1, v9
	v_add_co_u32_e32 v9, vcc, s4, v0
	v_mov_b32_e32 v11, s5
	v_addc_co_u32_e32 v11, vcc, v3, v11, vcc
	v_add_co_u32_e32 v15, vcc, -1, v9
	v_addc_co_u32_e32 v16, vcc, -1, v11, vcc
	v_cmp_le_i64_e32 vcc, v[1:2], v[15:16]
	v_mov_b32_e32 v16, s9
	v_mov_b32_e32 v15, s8
	v_cmp_ge_i64_e64 s[0:1], s[4:5], v[15:16]
	v_ashrrev_i32_e32 v13, 31, v12
	s_or_b64 s[0:1], vcc, s[0:1]
	s_add_u32 s4, s4, 1
	s_addc_u32 s5, s5, 0
	s_and_b64 s[0:1], exec, s[0:1]
	s_or_b64 s[14:15], s[0:1], s[14:15]
	v_mov_b32_e32 v9, v12
	s_andn2_b64 exec, exec, s[14:15]
	s_cbranch_execnz .LBB7_3
.LBB7_4:
	s_or_b64 exec, exec, s[24:25]
	v_sub_co_u32_e32 v0, vcc, v1, v8
	v_subb_co_u32_e32 v1, vcc, v2, v14, vcc
	v_cmp_gt_i64_e32 vcc, s[8:9], v[0:1]
	s_and_b64 exec, exec, vcc
	s_cbranch_execz .LBB7_7
; %bb.5:
	v_mul_lo_u32 v2, s17, v0
	v_mul_lo_u32 v3, s16, v1
	v_mad_u64_u32 v[8:9], s[0:1], s16, v0, 0
	s_lshl_b64 s[0:1], s[2:3], 2
	v_lshlrev_b64 v[4:5], 2, v[4:5]
	v_add3_u32 v9, v9, v3, v2
	v_lshlrev_b64 v[2:3], 3, v[8:9]
	s_lshl_b64 s[4:5], s[16:17], 3
	v_add_co_u32_e32 v2, vcc, v2, v6
	v_addc_co_u32_e32 v3, vcc, v3, v7, vcc
	v_mov_b32_e32 v6, s11
	v_add_co_u32_e32 v2, vcc, s10, v2
	v_addc_co_u32_e32 v3, vcc, v6, v3, vcc
	v_lshlrev_b64 v[6:7], 2, v[8:9]
	v_mov_b32_e32 v8, s1
	v_add_co_u32_e32 v6, vcc, s0, v6
	v_addc_co_u32_e32 v7, vcc, v7, v8, vcc
	v_add_co_u32_e32 v4, vcc, v6, v4
	v_addc_co_u32_e32 v5, vcc, v7, v5, vcc
	v_mov_b32_e32 v6, s13
	v_add_co_u32_e32 v4, vcc, s12, v4
	v_addc_co_u32_e32 v5, vcc, v6, v5, vcc
	s_lshl_b64 s[6:7], s[16:17], 2
	s_mov_b64 s[10:11], 0
	v_mov_b32_e32 v8, 0
	v_mov_b32_e32 v6, -1
.LBB7_6:                                ; =>This Inner Loop Header: Depth=1
	v_add_co_u32_e32 v0, vcc, 1, v0
	v_addc_co_u32_e32 v1, vcc, 0, v1, vcc
	v_mov_b32_e32 v7, v6
	v_cmp_le_i64_e64 s[0:1], s[8:9], v[0:1]
	global_store_dword v[4:5], v8, off
	v_mov_b32_e32 v9, s5
	v_mov_b32_e32 v10, s7
	v_add_co_u32_e32 v4, vcc, s6, v4
	global_store_dwordx2 v[2:3], v[6:7], off
	v_add_co_u32_e64 v2, s[2:3], s4, v2
	v_addc_co_u32_e64 v3, s[2:3], v3, v9, s[2:3]
	s_or_b64 s[10:11], s[0:1], s[10:11]
	v_addc_co_u32_e32 v5, vcc, v5, v10, vcc
	s_andn2_b64 exec, exec, s[10:11]
	s_cbranch_execnz .LBB7_6
.LBB7_7:
	s_endpgm
	.section	.rodata,"a",@progbits
	.p2align	6, 0x0
	.amdhsa_kernel _ZN9rocsparseL30csr2ell_strided_batched_kernelILj512EfllEEvT2_PKT0_lPKT1_PKS1_21rocsparse_index_base_S1_PS1_PS2_lSA_
		.amdhsa_group_segment_fixed_size 0
		.amdhsa_private_segment_fixed_size 0
		.amdhsa_kernarg_size 84
		.amdhsa_user_sgpr_count 6
		.amdhsa_user_sgpr_private_segment_buffer 1
		.amdhsa_user_sgpr_dispatch_ptr 0
		.amdhsa_user_sgpr_queue_ptr 0
		.amdhsa_user_sgpr_kernarg_segment_ptr 1
		.amdhsa_user_sgpr_dispatch_id 0
		.amdhsa_user_sgpr_flat_scratch_init 0
		.amdhsa_user_sgpr_private_segment_size 0
		.amdhsa_uses_dynamic_stack 0
		.amdhsa_system_sgpr_private_segment_wavefront_offset 0
		.amdhsa_system_sgpr_workgroup_id_x 1
		.amdhsa_system_sgpr_workgroup_id_y 1
		.amdhsa_system_sgpr_workgroup_id_z 0
		.amdhsa_system_sgpr_workgroup_info 0
		.amdhsa_system_vgpr_workitem_id 0
		.amdhsa_next_free_vgpr 20
		.amdhsa_next_free_sgpr 28
		.amdhsa_reserve_vcc 1
		.amdhsa_reserve_flat_scratch 0
		.amdhsa_float_round_mode_32 0
		.amdhsa_float_round_mode_16_64 0
		.amdhsa_float_denorm_mode_32 3
		.amdhsa_float_denorm_mode_16_64 3
		.amdhsa_dx10_clamp 1
		.amdhsa_ieee_mode 1
		.amdhsa_fp16_overflow 0
		.amdhsa_exception_fp_ieee_invalid_op 0
		.amdhsa_exception_fp_denorm_src 0
		.amdhsa_exception_fp_ieee_div_zero 0
		.amdhsa_exception_fp_ieee_overflow 0
		.amdhsa_exception_fp_ieee_underflow 0
		.amdhsa_exception_fp_ieee_inexact 0
		.amdhsa_exception_int_div_zero 0
	.end_amdhsa_kernel
	.section	.text._ZN9rocsparseL30csr2ell_strided_batched_kernelILj512EfllEEvT2_PKT0_lPKT1_PKS1_21rocsparse_index_base_S1_PS1_PS2_lSA_,"axG",@progbits,_ZN9rocsparseL30csr2ell_strided_batched_kernelILj512EfllEEvT2_PKT0_lPKT1_PKS1_21rocsparse_index_base_S1_PS1_PS2_lSA_,comdat
.Lfunc_end7:
	.size	_ZN9rocsparseL30csr2ell_strided_batched_kernelILj512EfllEEvT2_PKT0_lPKT1_PKS1_21rocsparse_index_base_S1_PS1_PS2_lSA_, .Lfunc_end7-_ZN9rocsparseL30csr2ell_strided_batched_kernelILj512EfllEEvT2_PKT0_lPKT1_PKS1_21rocsparse_index_base_S1_PS1_PS2_lSA_
                                        ; -- End function
	.set _ZN9rocsparseL30csr2ell_strided_batched_kernelILj512EfllEEvT2_PKT0_lPKT1_PKS1_21rocsparse_index_base_S1_PS1_PS2_lSA_.num_vgpr, 20
	.set _ZN9rocsparseL30csr2ell_strided_batched_kernelILj512EfllEEvT2_PKT0_lPKT1_PKS1_21rocsparse_index_base_S1_PS1_PS2_lSA_.num_agpr, 0
	.set _ZN9rocsparseL30csr2ell_strided_batched_kernelILj512EfllEEvT2_PKT0_lPKT1_PKS1_21rocsparse_index_base_S1_PS1_PS2_lSA_.numbered_sgpr, 28
	.set _ZN9rocsparseL30csr2ell_strided_batched_kernelILj512EfllEEvT2_PKT0_lPKT1_PKS1_21rocsparse_index_base_S1_PS1_PS2_lSA_.num_named_barrier, 0
	.set _ZN9rocsparseL30csr2ell_strided_batched_kernelILj512EfllEEvT2_PKT0_lPKT1_PKS1_21rocsparse_index_base_S1_PS1_PS2_lSA_.private_seg_size, 0
	.set _ZN9rocsparseL30csr2ell_strided_batched_kernelILj512EfllEEvT2_PKT0_lPKT1_PKS1_21rocsparse_index_base_S1_PS1_PS2_lSA_.uses_vcc, 1
	.set _ZN9rocsparseL30csr2ell_strided_batched_kernelILj512EfllEEvT2_PKT0_lPKT1_PKS1_21rocsparse_index_base_S1_PS1_PS2_lSA_.uses_flat_scratch, 0
	.set _ZN9rocsparseL30csr2ell_strided_batched_kernelILj512EfllEEvT2_PKT0_lPKT1_PKS1_21rocsparse_index_base_S1_PS1_PS2_lSA_.has_dyn_sized_stack, 0
	.set _ZN9rocsparseL30csr2ell_strided_batched_kernelILj512EfllEEvT2_PKT0_lPKT1_PKS1_21rocsparse_index_base_S1_PS1_PS2_lSA_.has_recursion, 0
	.set _ZN9rocsparseL30csr2ell_strided_batched_kernelILj512EfllEEvT2_PKT0_lPKT1_PKS1_21rocsparse_index_base_S1_PS1_PS2_lSA_.has_indirect_call, 0
	.section	.AMDGPU.csdata,"",@progbits
; Kernel info:
; codeLenInByte = 712
; TotalNumSgprs: 32
; NumVgprs: 20
; ScratchSize: 0
; MemoryBound: 0
; FloatMode: 240
; IeeeMode: 1
; LDSByteSize: 0 bytes/workgroup (compile time only)
; SGPRBlocks: 3
; VGPRBlocks: 4
; NumSGPRsForWavesPerEU: 32
; NumVGPRsForWavesPerEU: 20
; Occupancy: 10
; WaveLimiterHint : 0
; COMPUTE_PGM_RSRC2:SCRATCH_EN: 0
; COMPUTE_PGM_RSRC2:USER_SGPR: 6
; COMPUTE_PGM_RSRC2:TRAP_HANDLER: 0
; COMPUTE_PGM_RSRC2:TGID_X_EN: 1
; COMPUTE_PGM_RSRC2:TGID_Y_EN: 1
; COMPUTE_PGM_RSRC2:TGID_Z_EN: 0
; COMPUTE_PGM_RSRC2:TIDIG_COMP_CNT: 0
	.section	.text._ZN9rocsparseL30csr2ell_strided_batched_kernelILj512EdiiEEvT2_PKT0_lPKT1_PKS1_21rocsparse_index_base_S1_PS1_PS2_lSA_,"axG",@progbits,_ZN9rocsparseL30csr2ell_strided_batched_kernelILj512EdiiEEvT2_PKT0_lPKT1_PKS1_21rocsparse_index_base_S1_PS1_PS2_lSA_,comdat
	.globl	_ZN9rocsparseL30csr2ell_strided_batched_kernelILj512EdiiEEvT2_PKT0_lPKT1_PKS1_21rocsparse_index_base_S1_PS1_PS2_lSA_ ; -- Begin function _ZN9rocsparseL30csr2ell_strided_batched_kernelILj512EdiiEEvT2_PKT0_lPKT1_PKS1_21rocsparse_index_base_S1_PS1_PS2_lSA_
	.p2align	8
	.type	_ZN9rocsparseL30csr2ell_strided_batched_kernelILj512EdiiEEvT2_PKT0_lPKT1_PKS1_21rocsparse_index_base_S1_PS1_PS2_lSA_,@function
_ZN9rocsparseL30csr2ell_strided_batched_kernelILj512EdiiEEvT2_PKT0_lPKT1_PKS1_21rocsparse_index_base_S1_PS1_PS2_lSA_: ; @_ZN9rocsparseL30csr2ell_strided_batched_kernelILj512EdiiEEvT2_PKT0_lPKT1_PKS1_21rocsparse_index_base_S1_PS1_PS2_lSA_
; %bb.0:
	s_load_dword s16, s[4:5], 0x0
	s_lshl_b32 s6, s6, 9
	v_or_b32_e32 v1, s6, v0
	s_waitcnt lgkmcnt(0)
	v_cmp_gt_i32_e32 vcc, s16, v1
	s_and_saveexec_b64 s[0:1], vcc
	s_cbranch_execz .LBB8_7
; %bb.1:
	s_load_dwordx8 s[8:15], s[4:5], 0x8
	v_ashrrev_i32_e32 v2, 31, v1
	v_lshlrev_b64 v[2:3], 2, v[1:2]
	s_waitcnt lgkmcnt(0)
	v_mov_b32_e32 v4, s13
	v_add_co_u32_e32 v2, vcc, s12, v2
	v_addc_co_u32_e32 v3, vcc, v4, v3, vcc
	global_load_dwordx2 v[4:5], v[2:3], off
	s_load_dwordx2 s[18:19], s[4:5], 0x40
	s_load_dwordx2 s[12:13], s[4:5], 0x28
	s_load_dwordx4 s[0:3], s[4:5], 0x30
	s_waitcnt lgkmcnt(0)
	s_mul_i32 s17, s19, s7
	s_mul_hi_u32 s19, s18, s7
	s_mul_i32 s18, s18, s7
	s_add_i32 s19, s19, s17
	s_lshl_b64 s[18:19], s[18:19], 3
	s_add_u32 s17, s2, s18
	s_addc_u32 s18, s3, s19
	s_cmp_gt_i32 s13, 0
	s_cselect_b64 s[2:3], -1, 0
	s_waitcnt vmcnt(0)
	v_cmp_lt_i32_e32 vcc, v4, v5
	v_subrev_u32_e32 v3, s12, v4
	v_subrev_u32_e32 v9, s12, v5
	s_and_b64 s[20:21], s[2:3], vcc
	s_and_saveexec_b64 s[2:3], s[20:21]
	s_cbranch_execz .LBB8_4
; %bb.2:
	s_load_dword s4, s[4:5], 0x48
	v_ashrrev_i32_e32 v4, 31, v3
	s_mul_hi_u32 s5, s10, s7
	v_lshlrev_b64 v[5:6], 2, v[3:4]
	v_mov_b32_e32 v2, s15
	s_waitcnt lgkmcnt(0)
	s_sub_i32 s12, s4, s12
	s_mul_i32 s4, s11, s7
	s_add_i32 s5, s5, s4
	s_mul_i32 s4, s10, s7
	s_lshl_b64 s[4:5], s[4:5], 3
	v_add_co_u32_e32 v5, vcc, s14, v5
	v_lshlrev_b64 v[7:8], 3, v[3:4]
	s_add_u32 s4, s8, s4
	v_addc_co_u32_e32 v6, vcc, v2, v6, vcc
	s_addc_u32 s5, s9, s5
	v_mov_b32_e32 v2, s5
	v_add_co_u32_e32 v7, vcc, s4, v7
	v_addc_co_u32_e32 v8, vcc, v2, v8, vcc
	s_mov_b32 s7, 1
	s_mov_b64 s[4:5], 0
	v_mov_b32_e32 v4, s1
.LBB8_3:                                ; =>This Inner Loop Header: Depth=1
	global_load_dword v16, v[5:6], off
	global_load_dwordx2 v[10:11], v[7:8], off
	v_add_co_u32_e32 v5, vcc, 4, v5
	v_addc_co_u32_e32 v6, vcc, 0, v6, vcc
	v_ashrrev_i32_e32 v2, 31, v1
	v_add_co_u32_e32 v7, vcc, 8, v7
	v_add_u32_e32 v18, s7, v3
	s_cmp_ge_i32 s7, s13
	v_addc_co_u32_e32 v8, vcc, 0, v8, vcc
	v_lshlrev_b64 v[12:13], 2, v[1:2]
	v_cmp_ge_i32_e32 vcc, v18, v9
	s_cselect_b64 s[8:9], -1, 0
	v_lshlrev_b64 v[14:15], 3, v[1:2]
	s_or_b64 s[8:9], vcc, s[8:9]
	v_add_co_u32_e32 v12, vcc, s0, v12
	s_add_i32 s7, s7, 1
	v_addc_co_u32_e32 v13, vcc, v4, v13, vcc
	v_mov_b32_e32 v17, s18
	v_add_co_u32_e32 v14, vcc, s17, v14
	s_and_b64 s[8:9], exec, s[8:9]
	v_add_u32_e32 v1, s16, v1
	v_addc_co_u32_e32 v15, vcc, v17, v15, vcc
	s_or_b64 s[4:5], s[8:9], s[4:5]
	s_waitcnt vmcnt(1)
	v_add_u32_e32 v2, s12, v16
	s_waitcnt vmcnt(0)
	global_store_dwordx2 v[14:15], v[10:11], off
	global_store_dword v[12:13], v2, off
	s_andn2_b64 exec, exec, s[4:5]
	s_cbranch_execnz .LBB8_3
.LBB8_4:
	s_or_b64 exec, exec, s[2:3]
	v_sub_u32_e32 v4, v9, v3
	v_cmp_gt_i32_e32 vcc, s13, v4
	s_and_b64 exec, exec, vcc
	s_cbranch_execz .LBB8_7
; %bb.5:
	v_mul_lo_u32 v1, s16, v4
	v_mov_b32_e32 v2, 0
	s_mov_b64 s[2:3], 0
	v_mov_b32_e32 v5, s1
	v_mov_b32_e32 v6, -1
	v_add3_u32 v0, v0, v1, s6
	v_mov_b32_e32 v7, s18
	v_mov_b32_e32 v3, v2
.LBB8_6:                                ; =>This Inner Loop Header: Depth=1
	v_ashrrev_i32_e32 v1, 31, v0
	v_lshlrev_b64 v[8:9], 2, v[0:1]
	v_add_u32_e32 v4, 1, v4
	v_add_co_u32_e32 v8, vcc, s0, v8
	v_addc_co_u32_e32 v9, vcc, v5, v9, vcc
	global_store_dword v[8:9], v6, off
	v_lshlrev_b64 v[8:9], 3, v[0:1]
	v_add_u32_e32 v0, s16, v0
	v_add_co_u32_e32 v8, vcc, s17, v8
	v_addc_co_u32_e32 v9, vcc, v7, v9, vcc
	v_cmp_le_i32_e32 vcc, s13, v4
	s_or_b64 s[2:3], vcc, s[2:3]
	global_store_dwordx2 v[8:9], v[2:3], off
	s_andn2_b64 exec, exec, s[2:3]
	s_cbranch_execnz .LBB8_6
.LBB8_7:
	s_endpgm
	.section	.rodata,"a",@progbits
	.p2align	6, 0x0
	.amdhsa_kernel _ZN9rocsparseL30csr2ell_strided_batched_kernelILj512EdiiEEvT2_PKT0_lPKT1_PKS1_21rocsparse_index_base_S1_PS1_PS2_lSA_
		.amdhsa_group_segment_fixed_size 0
		.amdhsa_private_segment_fixed_size 0
		.amdhsa_kernarg_size 76
		.amdhsa_user_sgpr_count 6
		.amdhsa_user_sgpr_private_segment_buffer 1
		.amdhsa_user_sgpr_dispatch_ptr 0
		.amdhsa_user_sgpr_queue_ptr 0
		.amdhsa_user_sgpr_kernarg_segment_ptr 1
		.amdhsa_user_sgpr_dispatch_id 0
		.amdhsa_user_sgpr_flat_scratch_init 0
		.amdhsa_user_sgpr_private_segment_size 0
		.amdhsa_uses_dynamic_stack 0
		.amdhsa_system_sgpr_private_segment_wavefront_offset 0
		.amdhsa_system_sgpr_workgroup_id_x 1
		.amdhsa_system_sgpr_workgroup_id_y 1
		.amdhsa_system_sgpr_workgroup_id_z 0
		.amdhsa_system_sgpr_workgroup_info 0
		.amdhsa_system_vgpr_workitem_id 0
		.amdhsa_next_free_vgpr 19
		.amdhsa_next_free_sgpr 22
		.amdhsa_reserve_vcc 1
		.amdhsa_reserve_flat_scratch 0
		.amdhsa_float_round_mode_32 0
		.amdhsa_float_round_mode_16_64 0
		.amdhsa_float_denorm_mode_32 3
		.amdhsa_float_denorm_mode_16_64 3
		.amdhsa_dx10_clamp 1
		.amdhsa_ieee_mode 1
		.amdhsa_fp16_overflow 0
		.amdhsa_exception_fp_ieee_invalid_op 0
		.amdhsa_exception_fp_denorm_src 0
		.amdhsa_exception_fp_ieee_div_zero 0
		.amdhsa_exception_fp_ieee_overflow 0
		.amdhsa_exception_fp_ieee_underflow 0
		.amdhsa_exception_fp_ieee_inexact 0
		.amdhsa_exception_int_div_zero 0
	.end_amdhsa_kernel
	.section	.text._ZN9rocsparseL30csr2ell_strided_batched_kernelILj512EdiiEEvT2_PKT0_lPKT1_PKS1_21rocsparse_index_base_S1_PS1_PS2_lSA_,"axG",@progbits,_ZN9rocsparseL30csr2ell_strided_batched_kernelILj512EdiiEEvT2_PKT0_lPKT1_PKS1_21rocsparse_index_base_S1_PS1_PS2_lSA_,comdat
.Lfunc_end8:
	.size	_ZN9rocsparseL30csr2ell_strided_batched_kernelILj512EdiiEEvT2_PKT0_lPKT1_PKS1_21rocsparse_index_base_S1_PS1_PS2_lSA_, .Lfunc_end8-_ZN9rocsparseL30csr2ell_strided_batched_kernelILj512EdiiEEvT2_PKT0_lPKT1_PKS1_21rocsparse_index_base_S1_PS1_PS2_lSA_
                                        ; -- End function
	.set _ZN9rocsparseL30csr2ell_strided_batched_kernelILj512EdiiEEvT2_PKT0_lPKT1_PKS1_21rocsparse_index_base_S1_PS1_PS2_lSA_.num_vgpr, 19
	.set _ZN9rocsparseL30csr2ell_strided_batched_kernelILj512EdiiEEvT2_PKT0_lPKT1_PKS1_21rocsparse_index_base_S1_PS1_PS2_lSA_.num_agpr, 0
	.set _ZN9rocsparseL30csr2ell_strided_batched_kernelILj512EdiiEEvT2_PKT0_lPKT1_PKS1_21rocsparse_index_base_S1_PS1_PS2_lSA_.numbered_sgpr, 22
	.set _ZN9rocsparseL30csr2ell_strided_batched_kernelILj512EdiiEEvT2_PKT0_lPKT1_PKS1_21rocsparse_index_base_S1_PS1_PS2_lSA_.num_named_barrier, 0
	.set _ZN9rocsparseL30csr2ell_strided_batched_kernelILj512EdiiEEvT2_PKT0_lPKT1_PKS1_21rocsparse_index_base_S1_PS1_PS2_lSA_.private_seg_size, 0
	.set _ZN9rocsparseL30csr2ell_strided_batched_kernelILj512EdiiEEvT2_PKT0_lPKT1_PKS1_21rocsparse_index_base_S1_PS1_PS2_lSA_.uses_vcc, 1
	.set _ZN9rocsparseL30csr2ell_strided_batched_kernelILj512EdiiEEvT2_PKT0_lPKT1_PKS1_21rocsparse_index_base_S1_PS1_PS2_lSA_.uses_flat_scratch, 0
	.set _ZN9rocsparseL30csr2ell_strided_batched_kernelILj512EdiiEEvT2_PKT0_lPKT1_PKS1_21rocsparse_index_base_S1_PS1_PS2_lSA_.has_dyn_sized_stack, 0
	.set _ZN9rocsparseL30csr2ell_strided_batched_kernelILj512EdiiEEvT2_PKT0_lPKT1_PKS1_21rocsparse_index_base_S1_PS1_PS2_lSA_.has_recursion, 0
	.set _ZN9rocsparseL30csr2ell_strided_batched_kernelILj512EdiiEEvT2_PKT0_lPKT1_PKS1_21rocsparse_index_base_S1_PS1_PS2_lSA_.has_indirect_call, 0
	.section	.AMDGPU.csdata,"",@progbits
; Kernel info:
; codeLenInByte = 552
; TotalNumSgprs: 26
; NumVgprs: 19
; ScratchSize: 0
; MemoryBound: 0
; FloatMode: 240
; IeeeMode: 1
; LDSByteSize: 0 bytes/workgroup (compile time only)
; SGPRBlocks: 3
; VGPRBlocks: 4
; NumSGPRsForWavesPerEU: 26
; NumVGPRsForWavesPerEU: 19
; Occupancy: 10
; WaveLimiterHint : 0
; COMPUTE_PGM_RSRC2:SCRATCH_EN: 0
; COMPUTE_PGM_RSRC2:USER_SGPR: 6
; COMPUTE_PGM_RSRC2:TRAP_HANDLER: 0
; COMPUTE_PGM_RSRC2:TGID_X_EN: 1
; COMPUTE_PGM_RSRC2:TGID_Y_EN: 1
; COMPUTE_PGM_RSRC2:TGID_Z_EN: 0
; COMPUTE_PGM_RSRC2:TIDIG_COMP_CNT: 0
	.section	.text._ZN9rocsparseL30csr2ell_strided_batched_kernelILj512EdliEEvT2_PKT0_lPKT1_PKS1_21rocsparse_index_base_S1_PS1_PS2_lSA_,"axG",@progbits,_ZN9rocsparseL30csr2ell_strided_batched_kernelILj512EdliEEvT2_PKT0_lPKT1_PKS1_21rocsparse_index_base_S1_PS1_PS2_lSA_,comdat
	.globl	_ZN9rocsparseL30csr2ell_strided_batched_kernelILj512EdliEEvT2_PKT0_lPKT1_PKS1_21rocsparse_index_base_S1_PS1_PS2_lSA_ ; -- Begin function _ZN9rocsparseL30csr2ell_strided_batched_kernelILj512EdliEEvT2_PKT0_lPKT1_PKS1_21rocsparse_index_base_S1_PS1_PS2_lSA_
	.p2align	8
	.type	_ZN9rocsparseL30csr2ell_strided_batched_kernelILj512EdliEEvT2_PKT0_lPKT1_PKS1_21rocsparse_index_base_S1_PS1_PS2_lSA_,@function
_ZN9rocsparseL30csr2ell_strided_batched_kernelILj512EdliEEvT2_PKT0_lPKT1_PKS1_21rocsparse_index_base_S1_PS1_PS2_lSA_: ; @_ZN9rocsparseL30csr2ell_strided_batched_kernelILj512EdliEEvT2_PKT0_lPKT1_PKS1_21rocsparse_index_base_S1_PS1_PS2_lSA_
; %bb.0:
	s_load_dword s20, s[4:5], 0x0
	s_lshl_b32 s21, s6, 9
	v_or_b32_e32 v5, s21, v0
	s_waitcnt lgkmcnt(0)
	v_cmp_gt_i32_e32 vcc, s20, v5
	s_and_saveexec_b64 s[0:1], vcc
	s_cbranch_execz .LBB9_7
; %bb.1:
	s_load_dwordx8 s[8:15], s[4:5], 0x8
	v_ashrrev_i32_e32 v6, 31, v5
	v_lshlrev_b64 v[1:2], 3, v[5:6]
	s_waitcnt lgkmcnt(0)
	v_mov_b32_e32 v3, s13
	v_add_co_u32_e32 v1, vcc, s12, v1
	v_addc_co_u32_e32 v2, vcc, v3, v2, vcc
	global_load_dwordx4 v[1:4], v[1:2], off
	s_load_dwordx2 s[0:1], s[4:5], 0x40
	s_load_dwordx2 s[2:3], s[4:5], 0x28
	s_load_dwordx4 s[16:19], s[4:5], 0x30
	s_waitcnt lgkmcnt(0)
	s_mul_i32 s1, s1, s7
	s_mul_hi_u32 s6, s0, s7
	s_mul_i32 s0, s0, s7
	s_add_i32 s1, s6, s1
	s_lshl_b64 s[0:1], s[0:1], 3
	s_add_u32 s18, s18, s0
	s_addc_u32 s19, s19, s1
	s_cmp_gt_i32 s3, 0
	s_cselect_b64 s[0:1], -1, 0
	s_waitcnt vmcnt(0)
	v_subrev_co_u32_e32 v2, vcc, s2, v1
	v_subrev_co_u32_e32 v7, vcc, s2, v3
	v_subbrev_co_u32_e32 v8, vcc, 0, v4, vcc
	v_ashrrev_i32_e32 v3, 31, v2
	v_cmp_gt_i64_e32 vcc, v[7:8], v[2:3]
	s_and_b64 s[0:1], s[0:1], vcc
	s_and_saveexec_b64 s[12:13], s[0:1]
	s_cbranch_execz .LBB9_4
; %bb.2:
	s_load_dword s4, s[4:5], 0x48
	s_mul_i32 s0, s11, s7
	s_mul_hi_u32 s1, s10, s7
	s_add_i32 s1, s1, s0
	s_mul_i32 s0, s10, s7
	s_lshl_b64 s[0:1], s[0:1], 3
	v_subrev_u32_e32 v1, s2, v1
	s_add_u32 s8, s8, s0
	v_add_u32_e32 v1, 1, v1
	v_mov_b32_e32 v4, v3
	s_addc_u32 s9, s9, s1
	s_waitcnt lgkmcnt(0)
	s_sub_i32 s10, s4, s2
	v_ashrrev_i32_e32 v9, 31, v1
	s_mov_b64 s[4:5], 0
	s_mov_b64 s[6:7], 0
	v_mov_b32_e32 v3, v2
	v_mov_b32_e32 v10, v2
.LBB9_3:                                ; =>This Inner Loop Header: Depth=1
	v_lshlrev_b64 v[11:12], 2, v[3:4]
	v_mov_b32_e32 v6, s15
	v_lshlrev_b64 v[3:4], 3, v[3:4]
	v_add_co_u32_e32 v11, vcc, s14, v11
	v_addc_co_u32_e32 v12, vcc, v6, v12, vcc
	v_mov_b32_e32 v13, s9
	v_add_co_u32_e32 v3, vcc, s8, v3
	v_addc_co_u32_e32 v4, vcc, v13, v4, vcc
	global_load_dword v19, v[11:12], off
	global_load_dwordx2 v[13:14], v[3:4], off
	v_ashrrev_i32_e32 v6, 31, v5
	s_add_u32 s0, s6, 1
	v_add_u32_e32 v3, 1, v10
	v_mov_b32_e32 v10, s7
	v_add_co_u32_e32 v11, vcc, s6, v1
	v_lshlrev_b64 v[15:16], 2, v[5:6]
	s_addc_u32 s1, s7, 0
	v_addc_co_u32_e32 v12, vcc, v9, v10, vcc
	v_mov_b32_e32 v20, s17
	v_lshlrev_b64 v[17:18], 3, v[5:6]
	v_cmp_le_i64_e32 vcc, v[7:8], v[11:12]
	s_cmp_ge_i32 s0, s3
	s_mov_b64 s[6:7], s[0:1]
	v_add_co_u32_e64 v11, s[0:1], s16, v15
	v_addc_co_u32_e64 v12, s[0:1], v20, v16, s[0:1]
	v_mov_b32_e32 v21, s19
	v_add_co_u32_e64 v15, s[0:1], s18, v17
	v_addc_co_u32_e64 v16, s[0:1], v21, v18, s[0:1]
	s_cselect_b64 s[0:1], -1, 0
	s_or_b64 s[0:1], vcc, s[0:1]
	s_and_b64 s[0:1], exec, s[0:1]
	v_ashrrev_i32_e32 v4, 31, v3
	v_add_u32_e32 v5, s20, v5
	v_mov_b32_e32 v10, v3
	s_or_b64 s[4:5], s[0:1], s[4:5]
	s_waitcnt vmcnt(1)
	v_add_u32_e32 v6, s10, v19
	s_waitcnt vmcnt(0)
	global_store_dwordx2 v[15:16], v[13:14], off
	global_store_dword v[11:12], v6, off
	s_andn2_b64 exec, exec, s[4:5]
	s_cbranch_execnz .LBB9_3
.LBB9_4:
	s_or_b64 exec, exec, s[12:13]
	v_sub_u32_e32 v4, v7, v2
	v_cmp_gt_i32_e32 vcc, s3, v4
	s_and_b64 exec, exec, vcc
	s_cbranch_execz .LBB9_7
; %bb.5:
	v_mul_lo_u32 v1, s20, v4
	v_mov_b32_e32 v2, 0
	s_mov_b64 s[0:1], 0
	v_mov_b32_e32 v5, s17
	v_mov_b32_e32 v6, -1
	v_add3_u32 v0, v0, v1, s21
	v_mov_b32_e32 v7, s19
	v_mov_b32_e32 v3, v2
.LBB9_6:                                ; =>This Inner Loop Header: Depth=1
	v_ashrrev_i32_e32 v1, 31, v0
	v_lshlrev_b64 v[8:9], 2, v[0:1]
	v_add_u32_e32 v4, 1, v4
	v_add_co_u32_e32 v8, vcc, s16, v8
	v_addc_co_u32_e32 v9, vcc, v5, v9, vcc
	global_store_dword v[8:9], v6, off
	v_lshlrev_b64 v[8:9], 3, v[0:1]
	v_add_u32_e32 v0, s20, v0
	v_add_co_u32_e32 v8, vcc, s18, v8
	v_addc_co_u32_e32 v9, vcc, v7, v9, vcc
	v_cmp_le_i32_e32 vcc, s3, v4
	s_or_b64 s[0:1], vcc, s[0:1]
	global_store_dwordx2 v[8:9], v[2:3], off
	s_andn2_b64 exec, exec, s[0:1]
	s_cbranch_execnz .LBB9_6
.LBB9_7:
	s_endpgm
	.section	.rodata,"a",@progbits
	.p2align	6, 0x0
	.amdhsa_kernel _ZN9rocsparseL30csr2ell_strided_batched_kernelILj512EdliEEvT2_PKT0_lPKT1_PKS1_21rocsparse_index_base_S1_PS1_PS2_lSA_
		.amdhsa_group_segment_fixed_size 0
		.amdhsa_private_segment_fixed_size 0
		.amdhsa_kernarg_size 76
		.amdhsa_user_sgpr_count 6
		.amdhsa_user_sgpr_private_segment_buffer 1
		.amdhsa_user_sgpr_dispatch_ptr 0
		.amdhsa_user_sgpr_queue_ptr 0
		.amdhsa_user_sgpr_kernarg_segment_ptr 1
		.amdhsa_user_sgpr_dispatch_id 0
		.amdhsa_user_sgpr_flat_scratch_init 0
		.amdhsa_user_sgpr_private_segment_size 0
		.amdhsa_uses_dynamic_stack 0
		.amdhsa_system_sgpr_private_segment_wavefront_offset 0
		.amdhsa_system_sgpr_workgroup_id_x 1
		.amdhsa_system_sgpr_workgroup_id_y 1
		.amdhsa_system_sgpr_workgroup_id_z 0
		.amdhsa_system_sgpr_workgroup_info 0
		.amdhsa_system_vgpr_workitem_id 0
		.amdhsa_next_free_vgpr 22
		.amdhsa_next_free_sgpr 22
		.amdhsa_reserve_vcc 1
		.amdhsa_reserve_flat_scratch 0
		.amdhsa_float_round_mode_32 0
		.amdhsa_float_round_mode_16_64 0
		.amdhsa_float_denorm_mode_32 3
		.amdhsa_float_denorm_mode_16_64 3
		.amdhsa_dx10_clamp 1
		.amdhsa_ieee_mode 1
		.amdhsa_fp16_overflow 0
		.amdhsa_exception_fp_ieee_invalid_op 0
		.amdhsa_exception_fp_denorm_src 0
		.amdhsa_exception_fp_ieee_div_zero 0
		.amdhsa_exception_fp_ieee_overflow 0
		.amdhsa_exception_fp_ieee_underflow 0
		.amdhsa_exception_fp_ieee_inexact 0
		.amdhsa_exception_int_div_zero 0
	.end_amdhsa_kernel
	.section	.text._ZN9rocsparseL30csr2ell_strided_batched_kernelILj512EdliEEvT2_PKT0_lPKT1_PKS1_21rocsparse_index_base_S1_PS1_PS2_lSA_,"axG",@progbits,_ZN9rocsparseL30csr2ell_strided_batched_kernelILj512EdliEEvT2_PKT0_lPKT1_PKS1_21rocsparse_index_base_S1_PS1_PS2_lSA_,comdat
.Lfunc_end9:
	.size	_ZN9rocsparseL30csr2ell_strided_batched_kernelILj512EdliEEvT2_PKT0_lPKT1_PKS1_21rocsparse_index_base_S1_PS1_PS2_lSA_, .Lfunc_end9-_ZN9rocsparseL30csr2ell_strided_batched_kernelILj512EdliEEvT2_PKT0_lPKT1_PKS1_21rocsparse_index_base_S1_PS1_PS2_lSA_
                                        ; -- End function
	.set _ZN9rocsparseL30csr2ell_strided_batched_kernelILj512EdliEEvT2_PKT0_lPKT1_PKS1_21rocsparse_index_base_S1_PS1_PS2_lSA_.num_vgpr, 22
	.set _ZN9rocsparseL30csr2ell_strided_batched_kernelILj512EdliEEvT2_PKT0_lPKT1_PKS1_21rocsparse_index_base_S1_PS1_PS2_lSA_.num_agpr, 0
	.set _ZN9rocsparseL30csr2ell_strided_batched_kernelILj512EdliEEvT2_PKT0_lPKT1_PKS1_21rocsparse_index_base_S1_PS1_PS2_lSA_.numbered_sgpr, 22
	.set _ZN9rocsparseL30csr2ell_strided_batched_kernelILj512EdliEEvT2_PKT0_lPKT1_PKS1_21rocsparse_index_base_S1_PS1_PS2_lSA_.num_named_barrier, 0
	.set _ZN9rocsparseL30csr2ell_strided_batched_kernelILj512EdliEEvT2_PKT0_lPKT1_PKS1_21rocsparse_index_base_S1_PS1_PS2_lSA_.private_seg_size, 0
	.set _ZN9rocsparseL30csr2ell_strided_batched_kernelILj512EdliEEvT2_PKT0_lPKT1_PKS1_21rocsparse_index_base_S1_PS1_PS2_lSA_.uses_vcc, 1
	.set _ZN9rocsparseL30csr2ell_strided_batched_kernelILj512EdliEEvT2_PKT0_lPKT1_PKS1_21rocsparse_index_base_S1_PS1_PS2_lSA_.uses_flat_scratch, 0
	.set _ZN9rocsparseL30csr2ell_strided_batched_kernelILj512EdliEEvT2_PKT0_lPKT1_PKS1_21rocsparse_index_base_S1_PS1_PS2_lSA_.has_dyn_sized_stack, 0
	.set _ZN9rocsparseL30csr2ell_strided_batched_kernelILj512EdliEEvT2_PKT0_lPKT1_PKS1_21rocsparse_index_base_S1_PS1_PS2_lSA_.has_recursion, 0
	.set _ZN9rocsparseL30csr2ell_strided_batched_kernelILj512EdliEEvT2_PKT0_lPKT1_PKS1_21rocsparse_index_base_S1_PS1_PS2_lSA_.has_indirect_call, 0
	.section	.AMDGPU.csdata,"",@progbits
; Kernel info:
; codeLenInByte = 608
; TotalNumSgprs: 26
; NumVgprs: 22
; ScratchSize: 0
; MemoryBound: 0
; FloatMode: 240
; IeeeMode: 1
; LDSByteSize: 0 bytes/workgroup (compile time only)
; SGPRBlocks: 3
; VGPRBlocks: 5
; NumSGPRsForWavesPerEU: 26
; NumVGPRsForWavesPerEU: 22
; Occupancy: 10
; WaveLimiterHint : 0
; COMPUTE_PGM_RSRC2:SCRATCH_EN: 0
; COMPUTE_PGM_RSRC2:USER_SGPR: 6
; COMPUTE_PGM_RSRC2:TRAP_HANDLER: 0
; COMPUTE_PGM_RSRC2:TGID_X_EN: 1
; COMPUTE_PGM_RSRC2:TGID_Y_EN: 1
; COMPUTE_PGM_RSRC2:TGID_Z_EN: 0
; COMPUTE_PGM_RSRC2:TIDIG_COMP_CNT: 0
	.section	.text._ZN9rocsparseL30csr2ell_strided_batched_kernelILj512EdilEEvT2_PKT0_lPKT1_PKS1_21rocsparse_index_base_S1_PS1_PS2_lSA_,"axG",@progbits,_ZN9rocsparseL30csr2ell_strided_batched_kernelILj512EdilEEvT2_PKT0_lPKT1_PKS1_21rocsparse_index_base_S1_PS1_PS2_lSA_,comdat
	.globl	_ZN9rocsparseL30csr2ell_strided_batched_kernelILj512EdilEEvT2_PKT0_lPKT1_PKS1_21rocsparse_index_base_S1_PS1_PS2_lSA_ ; -- Begin function _ZN9rocsparseL30csr2ell_strided_batched_kernelILj512EdilEEvT2_PKT0_lPKT1_PKS1_21rocsparse_index_base_S1_PS1_PS2_lSA_
	.p2align	8
	.type	_ZN9rocsparseL30csr2ell_strided_batched_kernelILj512EdilEEvT2_PKT0_lPKT1_PKS1_21rocsparse_index_base_S1_PS1_PS2_lSA_,@function
_ZN9rocsparseL30csr2ell_strided_batched_kernelILj512EdilEEvT2_PKT0_lPKT1_PKS1_21rocsparse_index_base_S1_PS1_PS2_lSA_: ; @_ZN9rocsparseL30csr2ell_strided_batched_kernelILj512EdilEEvT2_PKT0_lPKT1_PKS1_21rocsparse_index_base_S1_PS1_PS2_lSA_
; %bb.0:
	s_load_dwordx8 s[8:15], s[4:5], 0x0
	s_lshl_b32 s6, s6, 9
	v_or_b32_e32 v1, s6, v0
	v_mov_b32_e32 v2, 0
	s_waitcnt lgkmcnt(0)
	v_cmp_gt_i64_e32 vcc, s[8:9], v[1:2]
	s_and_saveexec_b64 s[0:1], vcc
	s_cbranch_execz .LBB10_7
; %bb.1:
	v_lshlrev_b64 v[2:3], 2, v[1:2]
	v_mov_b32_e32 v4, s15
	v_add_co_u32_e32 v2, vcc, s14, v2
	v_addc_co_u32_e32 v3, vcc, v4, v3, vcc
	global_load_dwordx2 v[4:5], v[2:3], off
	s_load_dwordx8 s[16:23], s[4:5], 0x30
	s_load_dwordx2 s[0:1], s[4:5], 0x20
	s_load_dword s24, s[4:5], 0x28
	s_waitcnt lgkmcnt(0)
	s_mul_i32 s3, s23, s7
	s_mul_hi_u32 s9, s22, s7
	s_mul_i32 s2, s22, s7
	s_add_i32 s3, s9, s3
	v_cmp_gt_i64_e64 s[14:15], s[16:17], 0
	s_lshl_b64 s[2:3], s[2:3], 3
	s_add_u32 s9, s20, s2
	s_addc_u32 s20, s21, s3
	s_mov_b64 s[2:3], 0
	s_waitcnt vmcnt(0)
	v_cmp_lt_i32_e32 vcc, v4, v5
	v_subrev_u32_e32 v3, s24, v4
	v_subrev_u32_e32 v8, s24, v5
	s_and_b64 s[22:23], s[14:15], vcc
	s_and_saveexec_b64 s[14:15], s[22:23]
	s_cbranch_execz .LBB10_4
; %bb.2:
	s_load_dword s4, s[4:5], 0x50
	v_ashrrev_i32_e32 v4, 31, v3
	v_lshlrev_b64 v[6:7], 3, v[3:4]
	v_mov_b32_e32 v2, s1
	v_add_co_u32_e32 v4, vcc, s0, v6
	s_waitcnt lgkmcnt(0)
	s_sub_u32 s21, s4, s24
	s_mul_i32 s0, s13, s7
	s_mul_hi_u32 s1, s12, s7
	s_subb_u32 s22, 0, 0
	s_add_i32 s1, s1, s0
	s_mul_i32 s0, s12, s7
	s_lshl_b64 s[0:1], s[0:1], 3
	s_add_u32 s0, s10, s0
	v_addc_co_u32_e32 v5, vcc, v2, v7, vcc
	s_addc_u32 s1, s11, s1
	v_mov_b32_e32 v2, s1
	v_add_co_u32_e32 v6, vcc, s0, v6
	v_addc_co_u32_e32 v7, vcc, v2, v7, vcc
	s_mov_b64 s[4:5], 1
	v_mov_b32_e32 v9, s22
	v_mov_b32_e32 v10, s19
.LBB10_3:                               ; =>This Inner Loop Header: Depth=1
	global_load_dwordx2 v[11:12], v[4:5], off
	v_ashrrev_i32_e32 v2, 31, v1
	v_mov_b32_e32 v13, s16
	v_lshlrev_b64 v[15:16], 3, v[1:2]
	v_mov_b32_e32 v14, s17
	v_cmp_ge_i64_e32 vcc, s[4:5], v[13:14]
	v_add_co_u32_e64 v13, s[0:1], s18, v15
	v_addc_co_u32_e64 v14, s[0:1], v10, v16, s[0:1]
	v_mov_b32_e32 v17, s20
	v_add_co_u32_e64 v15, s[0:1], s9, v15
	v_addc_co_u32_e64 v16, s[0:1], v17, v16, s[0:1]
	global_load_dwordx2 v[17:18], v[6:7], off
	v_add_u32_e32 v2, s4, v3
	v_add_u32_e32 v1, s8, v1
	s_waitcnt vmcnt(1)
	v_add_co_u32_e64 v11, s[0:1], s21, v11
	v_addc_co_u32_e64 v12, s[0:1], v9, v12, s[0:1]
	v_add_co_u32_e64 v4, s[0:1], 8, v4
	v_addc_co_u32_e64 v5, s[0:1], 0, v5, s[0:1]
	;; [unrolled: 2-line block ×3, first 2 shown]
	v_cmp_ge_i32_e64 s[0:1], v2, v8
	s_or_b64 s[0:1], s[0:1], vcc
	s_add_u32 s4, s4, 1
	s_addc_u32 s5, s5, 0
	s_and_b64 s[0:1], exec, s[0:1]
	s_or_b64 s[2:3], s[0:1], s[2:3]
	s_waitcnt vmcnt(0)
	global_store_dwordx2 v[15:16], v[17:18], off
	global_store_dwordx2 v[13:14], v[11:12], off
	s_andn2_b64 exec, exec, s[2:3]
	s_cbranch_execnz .LBB10_3
.LBB10_4:
	s_or_b64 exec, exec, s[14:15]
	v_sub_u32_e32 v1, v8, v3
	v_ashrrev_i32_e32 v2, 31, v1
	v_cmp_gt_i64_e32 vcc, s[16:17], v[1:2]
	s_and_b64 exec, exec, vcc
	s_cbranch_execz .LBB10_7
; %bb.5:
	v_mul_lo_u32 v4, v1, s8
	v_mov_b32_e32 v3, -1
	v_mov_b32_e32 v7, 0
	s_mov_b64 s[0:1], 0
	v_mov_b32_e32 v9, s19
	v_add3_u32 v5, v0, v4, s6
	v_mov_b32_e32 v4, v3
	v_mov_b32_e32 v0, s20
	;; [unrolled: 1-line block ×3, first 2 shown]
.LBB10_6:                               ; =>This Inner Loop Header: Depth=1
	v_ashrrev_i32_e32 v6, 31, v5
	v_lshlrev_b64 v[10:11], 3, v[5:6]
	v_add_u32_e32 v5, s8, v5
	v_add_co_u32_e32 v12, vcc, s18, v10
	v_addc_co_u32_e32 v13, vcc, v9, v11, vcc
	v_add_co_u32_e32 v10, vcc, s9, v10
	v_addc_co_u32_e32 v11, vcc, v0, v11, vcc
	;; [unrolled: 2-line block ×3, first 2 shown]
	v_cmp_le_i64_e32 vcc, s[16:17], v[1:2]
	global_store_dwordx2 v[12:13], v[3:4], off
	s_or_b64 s[0:1], vcc, s[0:1]
	global_store_dwordx2 v[10:11], v[7:8], off
	s_andn2_b64 exec, exec, s[0:1]
	s_cbranch_execnz .LBB10_6
.LBB10_7:
	s_endpgm
	.section	.rodata,"a",@progbits
	.p2align	6, 0x0
	.amdhsa_kernel _ZN9rocsparseL30csr2ell_strided_batched_kernelILj512EdilEEvT2_PKT0_lPKT1_PKS1_21rocsparse_index_base_S1_PS1_PS2_lSA_
		.amdhsa_group_segment_fixed_size 0
		.amdhsa_private_segment_fixed_size 0
		.amdhsa_kernarg_size 84
		.amdhsa_user_sgpr_count 6
		.amdhsa_user_sgpr_private_segment_buffer 1
		.amdhsa_user_sgpr_dispatch_ptr 0
		.amdhsa_user_sgpr_queue_ptr 0
		.amdhsa_user_sgpr_kernarg_segment_ptr 1
		.amdhsa_user_sgpr_dispatch_id 0
		.amdhsa_user_sgpr_flat_scratch_init 0
		.amdhsa_user_sgpr_private_segment_size 0
		.amdhsa_uses_dynamic_stack 0
		.amdhsa_system_sgpr_private_segment_wavefront_offset 0
		.amdhsa_system_sgpr_workgroup_id_x 1
		.amdhsa_system_sgpr_workgroup_id_y 1
		.amdhsa_system_sgpr_workgroup_id_z 0
		.amdhsa_system_sgpr_workgroup_info 0
		.amdhsa_system_vgpr_workitem_id 0
		.amdhsa_next_free_vgpr 19
		.amdhsa_next_free_sgpr 25
		.amdhsa_reserve_vcc 1
		.amdhsa_reserve_flat_scratch 0
		.amdhsa_float_round_mode_32 0
		.amdhsa_float_round_mode_16_64 0
		.amdhsa_float_denorm_mode_32 3
		.amdhsa_float_denorm_mode_16_64 3
		.amdhsa_dx10_clamp 1
		.amdhsa_ieee_mode 1
		.amdhsa_fp16_overflow 0
		.amdhsa_exception_fp_ieee_invalid_op 0
		.amdhsa_exception_fp_denorm_src 0
		.amdhsa_exception_fp_ieee_div_zero 0
		.amdhsa_exception_fp_ieee_overflow 0
		.amdhsa_exception_fp_ieee_underflow 0
		.amdhsa_exception_fp_ieee_inexact 0
		.amdhsa_exception_int_div_zero 0
	.end_amdhsa_kernel
	.section	.text._ZN9rocsparseL30csr2ell_strided_batched_kernelILj512EdilEEvT2_PKT0_lPKT1_PKS1_21rocsparse_index_base_S1_PS1_PS2_lSA_,"axG",@progbits,_ZN9rocsparseL30csr2ell_strided_batched_kernelILj512EdilEEvT2_PKT0_lPKT1_PKS1_21rocsparse_index_base_S1_PS1_PS2_lSA_,comdat
.Lfunc_end10:
	.size	_ZN9rocsparseL30csr2ell_strided_batched_kernelILj512EdilEEvT2_PKT0_lPKT1_PKS1_21rocsparse_index_base_S1_PS1_PS2_lSA_, .Lfunc_end10-_ZN9rocsparseL30csr2ell_strided_batched_kernelILj512EdilEEvT2_PKT0_lPKT1_PKS1_21rocsparse_index_base_S1_PS1_PS2_lSA_
                                        ; -- End function
	.set _ZN9rocsparseL30csr2ell_strided_batched_kernelILj512EdilEEvT2_PKT0_lPKT1_PKS1_21rocsparse_index_base_S1_PS1_PS2_lSA_.num_vgpr, 19
	.set _ZN9rocsparseL30csr2ell_strided_batched_kernelILj512EdilEEvT2_PKT0_lPKT1_PKS1_21rocsparse_index_base_S1_PS1_PS2_lSA_.num_agpr, 0
	.set _ZN9rocsparseL30csr2ell_strided_batched_kernelILj512EdilEEvT2_PKT0_lPKT1_PKS1_21rocsparse_index_base_S1_PS1_PS2_lSA_.numbered_sgpr, 25
	.set _ZN9rocsparseL30csr2ell_strided_batched_kernelILj512EdilEEvT2_PKT0_lPKT1_PKS1_21rocsparse_index_base_S1_PS1_PS2_lSA_.num_named_barrier, 0
	.set _ZN9rocsparseL30csr2ell_strided_batched_kernelILj512EdilEEvT2_PKT0_lPKT1_PKS1_21rocsparse_index_base_S1_PS1_PS2_lSA_.private_seg_size, 0
	.set _ZN9rocsparseL30csr2ell_strided_batched_kernelILj512EdilEEvT2_PKT0_lPKT1_PKS1_21rocsparse_index_base_S1_PS1_PS2_lSA_.uses_vcc, 1
	.set _ZN9rocsparseL30csr2ell_strided_batched_kernelILj512EdilEEvT2_PKT0_lPKT1_PKS1_21rocsparse_index_base_S1_PS1_PS2_lSA_.uses_flat_scratch, 0
	.set _ZN9rocsparseL30csr2ell_strided_batched_kernelILj512EdilEEvT2_PKT0_lPKT1_PKS1_21rocsparse_index_base_S1_PS1_PS2_lSA_.has_dyn_sized_stack, 0
	.set _ZN9rocsparseL30csr2ell_strided_batched_kernelILj512EdilEEvT2_PKT0_lPKT1_PKS1_21rocsparse_index_base_S1_PS1_PS2_lSA_.has_recursion, 0
	.set _ZN9rocsparseL30csr2ell_strided_batched_kernelILj512EdilEEvT2_PKT0_lPKT1_PKS1_21rocsparse_index_base_S1_PS1_PS2_lSA_.has_indirect_call, 0
	.section	.AMDGPU.csdata,"",@progbits
; Kernel info:
; codeLenInByte = 592
; TotalNumSgprs: 29
; NumVgprs: 19
; ScratchSize: 0
; MemoryBound: 0
; FloatMode: 240
; IeeeMode: 1
; LDSByteSize: 0 bytes/workgroup (compile time only)
; SGPRBlocks: 3
; VGPRBlocks: 4
; NumSGPRsForWavesPerEU: 29
; NumVGPRsForWavesPerEU: 19
; Occupancy: 10
; WaveLimiterHint : 0
; COMPUTE_PGM_RSRC2:SCRATCH_EN: 0
; COMPUTE_PGM_RSRC2:USER_SGPR: 6
; COMPUTE_PGM_RSRC2:TRAP_HANDLER: 0
; COMPUTE_PGM_RSRC2:TGID_X_EN: 1
; COMPUTE_PGM_RSRC2:TGID_Y_EN: 1
; COMPUTE_PGM_RSRC2:TGID_Z_EN: 0
; COMPUTE_PGM_RSRC2:TIDIG_COMP_CNT: 0
	.section	.text._ZN9rocsparseL30csr2ell_strided_batched_kernelILj512EdllEEvT2_PKT0_lPKT1_PKS1_21rocsparse_index_base_S1_PS1_PS2_lSA_,"axG",@progbits,_ZN9rocsparseL30csr2ell_strided_batched_kernelILj512EdllEEvT2_PKT0_lPKT1_PKS1_21rocsparse_index_base_S1_PS1_PS2_lSA_,comdat
	.globl	_ZN9rocsparseL30csr2ell_strided_batched_kernelILj512EdllEEvT2_PKT0_lPKT1_PKS1_21rocsparse_index_base_S1_PS1_PS2_lSA_ ; -- Begin function _ZN9rocsparseL30csr2ell_strided_batched_kernelILj512EdllEEvT2_PKT0_lPKT1_PKS1_21rocsparse_index_base_S1_PS1_PS2_lSA_
	.p2align	8
	.type	_ZN9rocsparseL30csr2ell_strided_batched_kernelILj512EdllEEvT2_PKT0_lPKT1_PKS1_21rocsparse_index_base_S1_PS1_PS2_lSA_,@function
_ZN9rocsparseL30csr2ell_strided_batched_kernelILj512EdllEEvT2_PKT0_lPKT1_PKS1_21rocsparse_index_base_S1_PS1_PS2_lSA_: ; @_ZN9rocsparseL30csr2ell_strided_batched_kernelILj512EdllEEvT2_PKT0_lPKT1_PKS1_21rocsparse_index_base_S1_PS1_PS2_lSA_
; %bb.0:
	s_load_dwordx8 s[16:23], s[4:5], 0x0
	v_lshl_or_b32 v4, s6, 9, v0
	v_mov_b32_e32 v5, 0
	s_waitcnt lgkmcnt(0)
	v_cmp_gt_i64_e32 vcc, s[16:17], v[4:5]
	s_and_saveexec_b64 s[0:1], vcc
	s_cbranch_execz .LBB11_7
; %bb.1:
	v_lshlrev_b64 v[6:7], 3, v[4:5]
	v_mov_b32_e32 v1, s23
	v_add_co_u32_e32 v0, vcc, s22, v6
	v_addc_co_u32_e32 v1, vcc, v1, v7, vcc
	global_load_dwordx4 v[0:3], v[0:1], off
	s_load_dwordx8 s[8:15], s[4:5], 0x30
	s_load_dwordx2 s[2:3], s[4:5], 0x20
	s_load_dword s0, s[4:5], 0x28
	s_waitcnt lgkmcnt(0)
	s_mul_i32 s1, s15, s7
	s_mul_hi_u32 s6, s14, s7
	s_mul_i32 s14, s14, s7
	s_add_i32 s15, s6, s1
	s_lshl_b64 s[14:15], s[14:15], 3
	s_add_u32 s6, s12, s14
	s_addc_u32 s22, s13, s15
	v_cmp_gt_i64_e64 s[14:15], s[8:9], 0
	s_mov_b64 s[12:13], 0
	s_waitcnt vmcnt(0)
	v_subrev_co_u32_e32 v8, vcc, s0, v0
	v_subbrev_co_u32_e32 v11, vcc, 0, v1, vcc
	v_subrev_co_u32_e32 v1, vcc, s0, v2
	v_subbrev_co_u32_e32 v2, vcc, 0, v3, vcc
	v_ashrrev_i32_e32 v9, 31, v8
	v_cmp_gt_i64_e32 vcc, v[1:2], v[8:9]
	s_and_b64 s[24:25], s[14:15], vcc
	s_and_saveexec_b64 s[14:15], s[24:25]
	s_cbranch_execz .LBB11_4
; %bb.2:
	s_load_dword s1, s[4:5], 0x50
	s_mul_i32 s4, s21, s7
	s_mul_hi_u32 s5, s20, s7
	s_add_i32 s5, s5, s4
	s_mul_i32 s4, s20, s7
	s_lshl_b64 s[4:5], s[4:5], 3
	s_add_u32 s7, s18, s4
	s_addc_u32 s18, s19, s5
	v_subrev_u32_e32 v0, s0, v0
	s_waitcnt lgkmcnt(0)
	s_sub_u32 s19, s1, s0
	v_add_u32_e32 v0, 1, v0
	v_mov_b32_e32 v10, v9
	s_subb_u32 s20, 0, 0
	v_ashrrev_i32_e32 v3, 31, v0
	s_mov_b64 s[4:5], 1
	v_mov_b32_e32 v9, v8
	v_mov_b32_e32 v12, v8
.LBB11_3:                               ; =>This Inner Loop Header: Depth=1
	v_lshlrev_b64 v[9:10], 3, v[9:10]
	v_mov_b32_e32 v5, s3
	v_add_co_u32_e32 v13, vcc, s2, v9
	v_addc_co_u32_e32 v14, vcc, v5, v10, vcc
	v_mov_b32_e32 v15, s18
	v_add_co_u32_e32 v9, vcc, s7, v9
	v_addc_co_u32_e32 v10, vcc, v15, v10, vcc
	global_load_dwordx2 v[15:16], v[13:14], off
	global_load_dwordx2 v[17:18], v[9:10], off
	v_ashrrev_i32_e32 v5, 31, v4
	v_add_u32_e32 v9, 1, v12
	v_lshlrev_b64 v[12:13], 3, v[4:5]
	v_mov_b32_e32 v10, s11
	v_add_co_u32_e32 v19, vcc, s10, v12
	v_addc_co_u32_e32 v20, vcc, v10, v13, vcc
	v_mov_b32_e32 v14, s22
	v_add_co_u32_e32 v21, vcc, s6, v12
	v_addc_co_u32_e32 v22, vcc, v14, v13, vcc
	v_mov_b32_e32 v13, s9
	v_mov_b32_e32 v12, s8
	;; [unrolled: 1-line block ×3, first 2 shown]
	v_cmp_ge_i64_e32 vcc, s[4:5], v[12:13]
	v_add_co_u32_e64 v12, s[0:1], s4, v0
	v_addc_co_u32_e64 v5, s[0:1], v3, v5, s[0:1]
	v_add_co_u32_e64 v13, s[0:1], -1, v12
	v_addc_co_u32_e64 v14, s[0:1], -1, v5, s[0:1]
	v_cmp_le_i64_e64 s[0:1], v[1:2], v[13:14]
	v_mov_b32_e32 v23, s20
	s_or_b64 s[0:1], s[0:1], vcc
	s_add_u32 s4, s4, 1
	s_addc_u32 s5, s5, 0
	s_and_b64 s[0:1], exec, s[0:1]
	v_ashrrev_i32_e32 v10, 31, v9
	v_add_u32_e32 v4, s16, v4
	v_mov_b32_e32 v12, v9
	s_or_b64 s[12:13], s[0:1], s[12:13]
	s_waitcnt vmcnt(1)
	v_add_co_u32_e32 v13, vcc, s19, v15
	v_addc_co_u32_e32 v14, vcc, v23, v16, vcc
	s_waitcnt vmcnt(0)
	global_store_dwordx2 v[21:22], v[17:18], off
	global_store_dwordx2 v[19:20], v[13:14], off
	s_andn2_b64 exec, exec, s[12:13]
	s_cbranch_execnz .LBB11_3
.LBB11_4:
	s_or_b64 exec, exec, s[14:15]
	v_sub_co_u32_e32 v0, vcc, v1, v8
	v_subb_co_u32_e32 v1, vcc, v2, v11, vcc
	v_cmp_gt_i64_e32 vcc, s[8:9], v[0:1]
	s_and_b64 exec, exec, vcc
	s_cbranch_execz .LBB11_7
; %bb.5:
	v_mul_lo_u32 v4, s17, v0
	v_mul_lo_u32 v5, s16, v1
	v_mad_u64_u32 v[2:3], s[0:1], s16, v0, 0
	s_lshl_b64 s[2:3], s[16:17], 3
	s_mov_b64 s[4:5], 0
	v_add3_u32 v3, v3, v5, v4
	v_lshlrev_b64 v[2:3], 3, v[2:3]
	v_mov_b32_e32 v8, s11
	v_add_co_u32_e32 v6, vcc, v2, v6
	v_addc_co_u32_e32 v7, vcc, v3, v7, vcc
	v_mov_b32_e32 v2, -1
	v_mov_b32_e32 v9, s22
	v_mov_b32_e32 v4, 0
.LBB11_6:                               ; =>This Inner Loop Header: Depth=1
	v_add_co_u32_e32 v10, vcc, s10, v6
	v_addc_co_u32_e32 v11, vcc, v8, v7, vcc
	v_add_co_u32_e32 v12, vcc, s6, v6
	v_addc_co_u32_e32 v13, vcc, v9, v7, vcc
	v_add_co_u32_e32 v0, vcc, 1, v0
	v_addc_co_u32_e32 v1, vcc, 0, v1, vcc
	v_cmp_le_i64_e64 s[0:1], s[8:9], v[0:1]
	v_mov_b32_e32 v14, s3
	v_add_co_u32_e32 v6, vcc, s2, v6
	v_mov_b32_e32 v3, v2
	v_mov_b32_e32 v5, v4
	s_or_b64 s[4:5], s[0:1], s[4:5]
	v_addc_co_u32_e32 v7, vcc, v7, v14, vcc
	global_store_dwordx2 v[10:11], v[2:3], off
	global_store_dwordx2 v[12:13], v[4:5], off
	s_andn2_b64 exec, exec, s[4:5]
	s_cbranch_execnz .LBB11_6
.LBB11_7:
	s_endpgm
	.section	.rodata,"a",@progbits
	.p2align	6, 0x0
	.amdhsa_kernel _ZN9rocsparseL30csr2ell_strided_batched_kernelILj512EdllEEvT2_PKT0_lPKT1_PKS1_21rocsparse_index_base_S1_PS1_PS2_lSA_
		.amdhsa_group_segment_fixed_size 0
		.amdhsa_private_segment_fixed_size 0
		.amdhsa_kernarg_size 84
		.amdhsa_user_sgpr_count 6
		.amdhsa_user_sgpr_private_segment_buffer 1
		.amdhsa_user_sgpr_dispatch_ptr 0
		.amdhsa_user_sgpr_queue_ptr 0
		.amdhsa_user_sgpr_kernarg_segment_ptr 1
		.amdhsa_user_sgpr_dispatch_id 0
		.amdhsa_user_sgpr_flat_scratch_init 0
		.amdhsa_user_sgpr_private_segment_size 0
		.amdhsa_uses_dynamic_stack 0
		.amdhsa_system_sgpr_private_segment_wavefront_offset 0
		.amdhsa_system_sgpr_workgroup_id_x 1
		.amdhsa_system_sgpr_workgroup_id_y 1
		.amdhsa_system_sgpr_workgroup_id_z 0
		.amdhsa_system_sgpr_workgroup_info 0
		.amdhsa_system_vgpr_workitem_id 0
		.amdhsa_next_free_vgpr 24
		.amdhsa_next_free_sgpr 26
		.amdhsa_reserve_vcc 1
		.amdhsa_reserve_flat_scratch 0
		.amdhsa_float_round_mode_32 0
		.amdhsa_float_round_mode_16_64 0
		.amdhsa_float_denorm_mode_32 3
		.amdhsa_float_denorm_mode_16_64 3
		.amdhsa_dx10_clamp 1
		.amdhsa_ieee_mode 1
		.amdhsa_fp16_overflow 0
		.amdhsa_exception_fp_ieee_invalid_op 0
		.amdhsa_exception_fp_denorm_src 0
		.amdhsa_exception_fp_ieee_div_zero 0
		.amdhsa_exception_fp_ieee_overflow 0
		.amdhsa_exception_fp_ieee_underflow 0
		.amdhsa_exception_fp_ieee_inexact 0
		.amdhsa_exception_int_div_zero 0
	.end_amdhsa_kernel
	.section	.text._ZN9rocsparseL30csr2ell_strided_batched_kernelILj512EdllEEvT2_PKT0_lPKT1_PKS1_21rocsparse_index_base_S1_PS1_PS2_lSA_,"axG",@progbits,_ZN9rocsparseL30csr2ell_strided_batched_kernelILj512EdllEEvT2_PKT0_lPKT1_PKS1_21rocsparse_index_base_S1_PS1_PS2_lSA_,comdat
.Lfunc_end11:
	.size	_ZN9rocsparseL30csr2ell_strided_batched_kernelILj512EdllEEvT2_PKT0_lPKT1_PKS1_21rocsparse_index_base_S1_PS1_PS2_lSA_, .Lfunc_end11-_ZN9rocsparseL30csr2ell_strided_batched_kernelILj512EdllEEvT2_PKT0_lPKT1_PKS1_21rocsparse_index_base_S1_PS1_PS2_lSA_
                                        ; -- End function
	.set _ZN9rocsparseL30csr2ell_strided_batched_kernelILj512EdllEEvT2_PKT0_lPKT1_PKS1_21rocsparse_index_base_S1_PS1_PS2_lSA_.num_vgpr, 24
	.set _ZN9rocsparseL30csr2ell_strided_batched_kernelILj512EdllEEvT2_PKT0_lPKT1_PKS1_21rocsparse_index_base_S1_PS1_PS2_lSA_.num_agpr, 0
	.set _ZN9rocsparseL30csr2ell_strided_batched_kernelILj512EdllEEvT2_PKT0_lPKT1_PKS1_21rocsparse_index_base_S1_PS1_PS2_lSA_.numbered_sgpr, 26
	.set _ZN9rocsparseL30csr2ell_strided_batched_kernelILj512EdllEEvT2_PKT0_lPKT1_PKS1_21rocsparse_index_base_S1_PS1_PS2_lSA_.num_named_barrier, 0
	.set _ZN9rocsparseL30csr2ell_strided_batched_kernelILj512EdllEEvT2_PKT0_lPKT1_PKS1_21rocsparse_index_base_S1_PS1_PS2_lSA_.private_seg_size, 0
	.set _ZN9rocsparseL30csr2ell_strided_batched_kernelILj512EdllEEvT2_PKT0_lPKT1_PKS1_21rocsparse_index_base_S1_PS1_PS2_lSA_.uses_vcc, 1
	.set _ZN9rocsparseL30csr2ell_strided_batched_kernelILj512EdllEEvT2_PKT0_lPKT1_PKS1_21rocsparse_index_base_S1_PS1_PS2_lSA_.uses_flat_scratch, 0
	.set _ZN9rocsparseL30csr2ell_strided_batched_kernelILj512EdllEEvT2_PKT0_lPKT1_PKS1_21rocsparse_index_base_S1_PS1_PS2_lSA_.has_dyn_sized_stack, 0
	.set _ZN9rocsparseL30csr2ell_strided_batched_kernelILj512EdllEEvT2_PKT0_lPKT1_PKS1_21rocsparse_index_base_S1_PS1_PS2_lSA_.has_recursion, 0
	.set _ZN9rocsparseL30csr2ell_strided_batched_kernelILj512EdllEEvT2_PKT0_lPKT1_PKS1_21rocsparse_index_base_S1_PS1_PS2_lSA_.has_indirect_call, 0
	.section	.AMDGPU.csdata,"",@progbits
; Kernel info:
; codeLenInByte = 648
; TotalNumSgprs: 30
; NumVgprs: 24
; ScratchSize: 0
; MemoryBound: 0
; FloatMode: 240
; IeeeMode: 1
; LDSByteSize: 0 bytes/workgroup (compile time only)
; SGPRBlocks: 3
; VGPRBlocks: 5
; NumSGPRsForWavesPerEU: 30
; NumVGPRsForWavesPerEU: 24
; Occupancy: 10
; WaveLimiterHint : 0
; COMPUTE_PGM_RSRC2:SCRATCH_EN: 0
; COMPUTE_PGM_RSRC2:USER_SGPR: 6
; COMPUTE_PGM_RSRC2:TRAP_HANDLER: 0
; COMPUTE_PGM_RSRC2:TGID_X_EN: 1
; COMPUTE_PGM_RSRC2:TGID_Y_EN: 1
; COMPUTE_PGM_RSRC2:TGID_Z_EN: 0
; COMPUTE_PGM_RSRC2:TIDIG_COMP_CNT: 0
	.section	.text._ZN9rocsparseL30csr2ell_strided_batched_kernelILj512E21rocsparse_complex_numIfEiiEEvT2_PKT0_lPKT1_PKS3_21rocsparse_index_base_S3_PS3_PS4_lSC_,"axG",@progbits,_ZN9rocsparseL30csr2ell_strided_batched_kernelILj512E21rocsparse_complex_numIfEiiEEvT2_PKT0_lPKT1_PKS3_21rocsparse_index_base_S3_PS3_PS4_lSC_,comdat
	.globl	_ZN9rocsparseL30csr2ell_strided_batched_kernelILj512E21rocsparse_complex_numIfEiiEEvT2_PKT0_lPKT1_PKS3_21rocsparse_index_base_S3_PS3_PS4_lSC_ ; -- Begin function _ZN9rocsparseL30csr2ell_strided_batched_kernelILj512E21rocsparse_complex_numIfEiiEEvT2_PKT0_lPKT1_PKS3_21rocsparse_index_base_S3_PS3_PS4_lSC_
	.p2align	8
	.type	_ZN9rocsparseL30csr2ell_strided_batched_kernelILj512E21rocsparse_complex_numIfEiiEEvT2_PKT0_lPKT1_PKS3_21rocsparse_index_base_S3_PS3_PS4_lSC_,@function
_ZN9rocsparseL30csr2ell_strided_batched_kernelILj512E21rocsparse_complex_numIfEiiEEvT2_PKT0_lPKT1_PKS3_21rocsparse_index_base_S3_PS3_PS4_lSC_: ; @_ZN9rocsparseL30csr2ell_strided_batched_kernelILj512E21rocsparse_complex_numIfEiiEEvT2_PKT0_lPKT1_PKS3_21rocsparse_index_base_S3_PS3_PS4_lSC_
; %bb.0:
	s_load_dword s16, s[4:5], 0x0
	s_lshl_b32 s6, s6, 9
	v_or_b32_e32 v1, s6, v0
	s_waitcnt lgkmcnt(0)
	v_cmp_gt_i32_e32 vcc, s16, v1
	s_and_saveexec_b64 s[0:1], vcc
	s_cbranch_execz .LBB12_7
; %bb.1:
	s_load_dwordx8 s[8:15], s[4:5], 0x8
	v_ashrrev_i32_e32 v2, 31, v1
	v_lshlrev_b64 v[2:3], 2, v[1:2]
	s_waitcnt lgkmcnt(0)
	v_mov_b32_e32 v4, s13
	v_add_co_u32_e32 v2, vcc, s12, v2
	v_addc_co_u32_e32 v3, vcc, v4, v3, vcc
	global_load_dwordx2 v[4:5], v[2:3], off
	s_load_dwordx2 s[18:19], s[4:5], 0x40
	s_load_dwordx2 s[12:13], s[4:5], 0x28
	s_load_dwordx4 s[0:3], s[4:5], 0x30
	s_waitcnt lgkmcnt(0)
	s_mul_i32 s17, s19, s7
	s_mul_hi_u32 s19, s18, s7
	s_mul_i32 s18, s18, s7
	s_add_i32 s19, s19, s17
	s_lshl_b64 s[18:19], s[18:19], 3
	s_add_u32 s17, s2, s18
	s_addc_u32 s18, s3, s19
	s_cmp_gt_i32 s13, 0
	s_cselect_b64 s[2:3], -1, 0
	s_waitcnt vmcnt(0)
	v_cmp_lt_i32_e32 vcc, v4, v5
	v_subrev_u32_e32 v3, s12, v4
	v_subrev_u32_e32 v9, s12, v5
	s_and_b64 s[20:21], s[2:3], vcc
	s_and_saveexec_b64 s[2:3], s[20:21]
	s_cbranch_execz .LBB12_4
; %bb.2:
	s_load_dword s4, s[4:5], 0x48
	v_ashrrev_i32_e32 v4, 31, v3
	s_mul_hi_u32 s5, s10, s7
	v_lshlrev_b64 v[5:6], 2, v[3:4]
	v_mov_b32_e32 v2, s15
	s_waitcnt lgkmcnt(0)
	s_sub_i32 s12, s4, s12
	s_mul_i32 s4, s11, s7
	s_add_i32 s5, s5, s4
	s_mul_i32 s4, s10, s7
	s_lshl_b64 s[4:5], s[4:5], 3
	v_add_co_u32_e32 v5, vcc, s14, v5
	v_lshlrev_b64 v[7:8], 3, v[3:4]
	s_add_u32 s4, s8, s4
	v_addc_co_u32_e32 v6, vcc, v2, v6, vcc
	s_addc_u32 s5, s9, s5
	v_mov_b32_e32 v2, s5
	v_add_co_u32_e32 v7, vcc, s4, v7
	v_addc_co_u32_e32 v8, vcc, v2, v8, vcc
	s_mov_b32 s7, 1
	s_mov_b64 s[4:5], 0
	v_mov_b32_e32 v4, s1
.LBB12_3:                               ; =>This Inner Loop Header: Depth=1
	global_load_dword v12, v[5:6], off
	v_ashrrev_i32_e32 v2, 31, v1
	v_lshlrev_b64 v[10:11], 2, v[1:2]
	v_add_u32_e32 v15, s7, v3
	v_add_co_u32_e32 v10, vcc, s0, v10
	v_addc_co_u32_e32 v11, vcc, v4, v11, vcc
	v_add_co_u32_e32 v5, vcc, 4, v5
	s_cmp_ge_i32 s7, s13
	v_addc_co_u32_e32 v6, vcc, 0, v6, vcc
	v_cmp_ge_i32_e32 vcc, v15, v9
	s_cselect_b64 s[8:9], -1, 0
	v_mov_b32_e32 v14, s18
	s_or_b64 s[8:9], vcc, s[8:9]
	s_add_i32 s7, s7, 1
	s_and_b64 s[8:9], exec, s[8:9]
	s_or_b64 s[4:5], s[8:9], s[4:5]
	s_waitcnt vmcnt(0)
	v_add_u32_e32 v12, s12, v12
	global_store_dword v[10:11], v12, off
	global_load_dwordx2 v[10:11], v[7:8], off
	v_lshlrev_b64 v[12:13], 3, v[1:2]
	v_add_u32_e32 v1, s16, v1
	v_add_co_u32_e32 v12, vcc, s17, v12
	v_addc_co_u32_e32 v13, vcc, v14, v13, vcc
	v_add_co_u32_e32 v7, vcc, 8, v7
	v_addc_co_u32_e32 v8, vcc, 0, v8, vcc
	s_waitcnt vmcnt(0)
	global_store_dwordx2 v[12:13], v[10:11], off
	s_andn2_b64 exec, exec, s[4:5]
	s_cbranch_execnz .LBB12_3
.LBB12_4:
	s_or_b64 exec, exec, s[2:3]
	v_sub_u32_e32 v4, v9, v3
	v_cmp_gt_i32_e32 vcc, s13, v4
	s_and_b64 exec, exec, vcc
	s_cbranch_execz .LBB12_7
; %bb.5:
	v_mul_lo_u32 v1, s16, v4
	v_mov_b32_e32 v2, 0
	s_mov_b64 s[2:3], 0
	v_mov_b32_e32 v5, s1
	v_mov_b32_e32 v6, -1
	v_add3_u32 v0, v0, v1, s6
	v_mov_b32_e32 v7, s18
	v_mov_b32_e32 v3, v2
.LBB12_6:                               ; =>This Inner Loop Header: Depth=1
	v_ashrrev_i32_e32 v1, 31, v0
	v_lshlrev_b64 v[8:9], 2, v[0:1]
	v_add_u32_e32 v4, 1, v4
	v_add_co_u32_e32 v8, vcc, s0, v8
	v_addc_co_u32_e32 v9, vcc, v5, v9, vcc
	global_store_dword v[8:9], v6, off
	v_lshlrev_b64 v[8:9], 3, v[0:1]
	v_add_u32_e32 v0, s16, v0
	v_add_co_u32_e32 v8, vcc, s17, v8
	v_addc_co_u32_e32 v9, vcc, v7, v9, vcc
	v_cmp_le_i32_e32 vcc, s13, v4
	s_or_b64 s[2:3], vcc, s[2:3]
	global_store_dwordx2 v[8:9], v[2:3], off
	s_andn2_b64 exec, exec, s[2:3]
	s_cbranch_execnz .LBB12_6
.LBB12_7:
	s_endpgm
	.section	.rodata,"a",@progbits
	.p2align	6, 0x0
	.amdhsa_kernel _ZN9rocsparseL30csr2ell_strided_batched_kernelILj512E21rocsparse_complex_numIfEiiEEvT2_PKT0_lPKT1_PKS3_21rocsparse_index_base_S3_PS3_PS4_lSC_
		.amdhsa_group_segment_fixed_size 0
		.amdhsa_private_segment_fixed_size 0
		.amdhsa_kernarg_size 76
		.amdhsa_user_sgpr_count 6
		.amdhsa_user_sgpr_private_segment_buffer 1
		.amdhsa_user_sgpr_dispatch_ptr 0
		.amdhsa_user_sgpr_queue_ptr 0
		.amdhsa_user_sgpr_kernarg_segment_ptr 1
		.amdhsa_user_sgpr_dispatch_id 0
		.amdhsa_user_sgpr_flat_scratch_init 0
		.amdhsa_user_sgpr_private_segment_size 0
		.amdhsa_uses_dynamic_stack 0
		.amdhsa_system_sgpr_private_segment_wavefront_offset 0
		.amdhsa_system_sgpr_workgroup_id_x 1
		.amdhsa_system_sgpr_workgroup_id_y 1
		.amdhsa_system_sgpr_workgroup_id_z 0
		.amdhsa_system_sgpr_workgroup_info 0
		.amdhsa_system_vgpr_workitem_id 0
		.amdhsa_next_free_vgpr 16
		.amdhsa_next_free_sgpr 22
		.amdhsa_reserve_vcc 1
		.amdhsa_reserve_flat_scratch 0
		.amdhsa_float_round_mode_32 0
		.amdhsa_float_round_mode_16_64 0
		.amdhsa_float_denorm_mode_32 3
		.amdhsa_float_denorm_mode_16_64 3
		.amdhsa_dx10_clamp 1
		.amdhsa_ieee_mode 1
		.amdhsa_fp16_overflow 0
		.amdhsa_exception_fp_ieee_invalid_op 0
		.amdhsa_exception_fp_denorm_src 0
		.amdhsa_exception_fp_ieee_div_zero 0
		.amdhsa_exception_fp_ieee_overflow 0
		.amdhsa_exception_fp_ieee_underflow 0
		.amdhsa_exception_fp_ieee_inexact 0
		.amdhsa_exception_int_div_zero 0
	.end_amdhsa_kernel
	.section	.text._ZN9rocsparseL30csr2ell_strided_batched_kernelILj512E21rocsparse_complex_numIfEiiEEvT2_PKT0_lPKT1_PKS3_21rocsparse_index_base_S3_PS3_PS4_lSC_,"axG",@progbits,_ZN9rocsparseL30csr2ell_strided_batched_kernelILj512E21rocsparse_complex_numIfEiiEEvT2_PKT0_lPKT1_PKS3_21rocsparse_index_base_S3_PS3_PS4_lSC_,comdat
.Lfunc_end12:
	.size	_ZN9rocsparseL30csr2ell_strided_batched_kernelILj512E21rocsparse_complex_numIfEiiEEvT2_PKT0_lPKT1_PKS3_21rocsparse_index_base_S3_PS3_PS4_lSC_, .Lfunc_end12-_ZN9rocsparseL30csr2ell_strided_batched_kernelILj512E21rocsparse_complex_numIfEiiEEvT2_PKT0_lPKT1_PKS3_21rocsparse_index_base_S3_PS3_PS4_lSC_
                                        ; -- End function
	.set _ZN9rocsparseL30csr2ell_strided_batched_kernelILj512E21rocsparse_complex_numIfEiiEEvT2_PKT0_lPKT1_PKS3_21rocsparse_index_base_S3_PS3_PS4_lSC_.num_vgpr, 16
	.set _ZN9rocsparseL30csr2ell_strided_batched_kernelILj512E21rocsparse_complex_numIfEiiEEvT2_PKT0_lPKT1_PKS3_21rocsparse_index_base_S3_PS3_PS4_lSC_.num_agpr, 0
	.set _ZN9rocsparseL30csr2ell_strided_batched_kernelILj512E21rocsparse_complex_numIfEiiEEvT2_PKT0_lPKT1_PKS3_21rocsparse_index_base_S3_PS3_PS4_lSC_.numbered_sgpr, 22
	.set _ZN9rocsparseL30csr2ell_strided_batched_kernelILj512E21rocsparse_complex_numIfEiiEEvT2_PKT0_lPKT1_PKS3_21rocsparse_index_base_S3_PS3_PS4_lSC_.num_named_barrier, 0
	.set _ZN9rocsparseL30csr2ell_strided_batched_kernelILj512E21rocsparse_complex_numIfEiiEEvT2_PKT0_lPKT1_PKS3_21rocsparse_index_base_S3_PS3_PS4_lSC_.private_seg_size, 0
	.set _ZN9rocsparseL30csr2ell_strided_batched_kernelILj512E21rocsparse_complex_numIfEiiEEvT2_PKT0_lPKT1_PKS3_21rocsparse_index_base_S3_PS3_PS4_lSC_.uses_vcc, 1
	.set _ZN9rocsparseL30csr2ell_strided_batched_kernelILj512E21rocsparse_complex_numIfEiiEEvT2_PKT0_lPKT1_PKS3_21rocsparse_index_base_S3_PS3_PS4_lSC_.uses_flat_scratch, 0
	.set _ZN9rocsparseL30csr2ell_strided_batched_kernelILj512E21rocsparse_complex_numIfEiiEEvT2_PKT0_lPKT1_PKS3_21rocsparse_index_base_S3_PS3_PS4_lSC_.has_dyn_sized_stack, 0
	.set _ZN9rocsparseL30csr2ell_strided_batched_kernelILj512E21rocsparse_complex_numIfEiiEEvT2_PKT0_lPKT1_PKS3_21rocsparse_index_base_S3_PS3_PS4_lSC_.has_recursion, 0
	.set _ZN9rocsparseL30csr2ell_strided_batched_kernelILj512E21rocsparse_complex_numIfEiiEEvT2_PKT0_lPKT1_PKS3_21rocsparse_index_base_S3_PS3_PS4_lSC_.has_indirect_call, 0
	.section	.AMDGPU.csdata,"",@progbits
; Kernel info:
; codeLenInByte = 552
; TotalNumSgprs: 26
; NumVgprs: 16
; ScratchSize: 0
; MemoryBound: 0
; FloatMode: 240
; IeeeMode: 1
; LDSByteSize: 0 bytes/workgroup (compile time only)
; SGPRBlocks: 3
; VGPRBlocks: 3
; NumSGPRsForWavesPerEU: 26
; NumVGPRsForWavesPerEU: 16
; Occupancy: 10
; WaveLimiterHint : 0
; COMPUTE_PGM_RSRC2:SCRATCH_EN: 0
; COMPUTE_PGM_RSRC2:USER_SGPR: 6
; COMPUTE_PGM_RSRC2:TRAP_HANDLER: 0
; COMPUTE_PGM_RSRC2:TGID_X_EN: 1
; COMPUTE_PGM_RSRC2:TGID_Y_EN: 1
; COMPUTE_PGM_RSRC2:TGID_Z_EN: 0
; COMPUTE_PGM_RSRC2:TIDIG_COMP_CNT: 0
	.section	.text._ZN9rocsparseL30csr2ell_strided_batched_kernelILj512E21rocsparse_complex_numIfEliEEvT2_PKT0_lPKT1_PKS3_21rocsparse_index_base_S3_PS3_PS4_lSC_,"axG",@progbits,_ZN9rocsparseL30csr2ell_strided_batched_kernelILj512E21rocsparse_complex_numIfEliEEvT2_PKT0_lPKT1_PKS3_21rocsparse_index_base_S3_PS3_PS4_lSC_,comdat
	.globl	_ZN9rocsparseL30csr2ell_strided_batched_kernelILj512E21rocsparse_complex_numIfEliEEvT2_PKT0_lPKT1_PKS3_21rocsparse_index_base_S3_PS3_PS4_lSC_ ; -- Begin function _ZN9rocsparseL30csr2ell_strided_batched_kernelILj512E21rocsparse_complex_numIfEliEEvT2_PKT0_lPKT1_PKS3_21rocsparse_index_base_S3_PS3_PS4_lSC_
	.p2align	8
	.type	_ZN9rocsparseL30csr2ell_strided_batched_kernelILj512E21rocsparse_complex_numIfEliEEvT2_PKT0_lPKT1_PKS3_21rocsparse_index_base_S3_PS3_PS4_lSC_,@function
_ZN9rocsparseL30csr2ell_strided_batched_kernelILj512E21rocsparse_complex_numIfEliEEvT2_PKT0_lPKT1_PKS3_21rocsparse_index_base_S3_PS3_PS4_lSC_: ; @_ZN9rocsparseL30csr2ell_strided_batched_kernelILj512E21rocsparse_complex_numIfEliEEvT2_PKT0_lPKT1_PKS3_21rocsparse_index_base_S3_PS3_PS4_lSC_
; %bb.0:
	s_load_dword s20, s[4:5], 0x0
	s_lshl_b32 s21, s6, 9
	v_or_b32_e32 v5, s21, v0
	s_waitcnt lgkmcnt(0)
	v_cmp_gt_i32_e32 vcc, s20, v5
	s_and_saveexec_b64 s[0:1], vcc
	s_cbranch_execz .LBB13_7
; %bb.1:
	s_load_dwordx8 s[8:15], s[4:5], 0x8
	v_ashrrev_i32_e32 v6, 31, v5
	v_lshlrev_b64 v[1:2], 3, v[5:6]
	s_waitcnt lgkmcnt(0)
	v_mov_b32_e32 v3, s13
	v_add_co_u32_e32 v1, vcc, s12, v1
	v_addc_co_u32_e32 v2, vcc, v3, v2, vcc
	global_load_dwordx4 v[1:4], v[1:2], off
	s_load_dwordx2 s[0:1], s[4:5], 0x40
	s_load_dwordx2 s[2:3], s[4:5], 0x28
	s_load_dwordx4 s[16:19], s[4:5], 0x30
	s_waitcnt lgkmcnt(0)
	s_mul_i32 s1, s1, s7
	s_mul_hi_u32 s6, s0, s7
	s_mul_i32 s0, s0, s7
	s_add_i32 s1, s6, s1
	s_lshl_b64 s[0:1], s[0:1], 3
	s_add_u32 s18, s18, s0
	s_addc_u32 s19, s19, s1
	s_cmp_gt_i32 s3, 0
	s_cselect_b64 s[0:1], -1, 0
	s_waitcnt vmcnt(0)
	v_subrev_co_u32_e32 v2, vcc, s2, v1
	v_subrev_co_u32_e32 v7, vcc, s2, v3
	v_subbrev_co_u32_e32 v8, vcc, 0, v4, vcc
	v_ashrrev_i32_e32 v3, 31, v2
	v_cmp_gt_i64_e32 vcc, v[7:8], v[2:3]
	s_and_b64 s[0:1], s[0:1], vcc
	s_and_saveexec_b64 s[12:13], s[0:1]
	s_cbranch_execz .LBB13_4
; %bb.2:
	s_load_dword s4, s[4:5], 0x48
	s_mul_i32 s0, s11, s7
	s_mul_hi_u32 s1, s10, s7
	s_add_i32 s1, s1, s0
	s_mul_i32 s0, s10, s7
	s_lshl_b64 s[0:1], s[0:1], 3
	v_subrev_u32_e32 v1, s2, v1
	s_add_u32 s8, s8, s0
	v_add_u32_e32 v1, 1, v1
	v_mov_b32_e32 v4, v3
	s_addc_u32 s9, s9, s1
	s_waitcnt lgkmcnt(0)
	s_sub_i32 s10, s4, s2
	v_ashrrev_i32_e32 v9, 31, v1
	s_mov_b64 s[4:5], 0
	s_mov_b64 s[6:7], 0
	v_mov_b32_e32 v3, v2
	v_mov_b32_e32 v10, v2
.LBB13_3:                               ; =>This Inner Loop Header: Depth=1
	v_lshlrev_b64 v[11:12], 2, v[3:4]
	v_mov_b32_e32 v6, s15
	v_add_co_u32_e32 v11, vcc, s14, v11
	v_addc_co_u32_e32 v12, vcc, v6, v12, vcc
	global_load_dword v13, v[11:12], off
	v_lshlrev_b64 v[3:4], 3, v[3:4]
	v_ashrrev_i32_e32 v6, 31, v5
	v_mov_b32_e32 v15, s9
	v_lshlrev_b64 v[11:12], 2, v[5:6]
	v_add_co_u32_e32 v3, vcc, s8, v3
	v_addc_co_u32_e32 v4, vcc, v15, v4, vcc
	v_mov_b32_e32 v14, s17
	v_add_co_u32_e32 v11, vcc, s16, v11
	v_addc_co_u32_e32 v12, vcc, v14, v12, vcc
	s_add_u32 s0, s6, 1
	v_lshlrev_b64 v[15:16], 3, v[5:6]
	s_addc_u32 s1, s7, 0
	v_mov_b32_e32 v17, s19
	s_cmp_ge_i32 s0, s3
	v_add_u32_e32 v5, s20, v5
	s_waitcnt vmcnt(0)
	v_add_u32_e32 v13, s10, v13
	global_store_dword v[11:12], v13, off
	global_load_dwordx2 v[11:12], v[3:4], off
	v_add_u32_e32 v3, 1, v10
	v_mov_b32_e32 v10, s7
	v_add_co_u32_e32 v13, vcc, s6, v1
	v_addc_co_u32_e32 v14, vcc, v9, v10, vcc
	v_cmp_le_i64_e32 vcc, v[7:8], v[13:14]
	s_mov_b64 s[6:7], s[0:1]
	v_add_co_u32_e64 v13, s[0:1], s18, v15
	v_addc_co_u32_e64 v14, s[0:1], v17, v16, s[0:1]
	s_cselect_b64 s[0:1], -1, 0
	s_or_b64 s[0:1], vcc, s[0:1]
	s_and_b64 s[0:1], exec, s[0:1]
	v_ashrrev_i32_e32 v4, 31, v3
	v_mov_b32_e32 v10, v3
	s_or_b64 s[4:5], s[0:1], s[4:5]
	s_waitcnt vmcnt(0)
	global_store_dwordx2 v[13:14], v[11:12], off
	s_andn2_b64 exec, exec, s[4:5]
	s_cbranch_execnz .LBB13_3
.LBB13_4:
	s_or_b64 exec, exec, s[12:13]
	v_sub_u32_e32 v4, v7, v2
	v_cmp_gt_i32_e32 vcc, s3, v4
	s_and_b64 exec, exec, vcc
	s_cbranch_execz .LBB13_7
; %bb.5:
	v_mul_lo_u32 v1, s20, v4
	v_mov_b32_e32 v2, 0
	s_mov_b64 s[0:1], 0
	v_mov_b32_e32 v5, s17
	v_mov_b32_e32 v6, -1
	v_add3_u32 v0, v0, v1, s21
	v_mov_b32_e32 v7, s19
	v_mov_b32_e32 v3, v2
.LBB13_6:                               ; =>This Inner Loop Header: Depth=1
	v_ashrrev_i32_e32 v1, 31, v0
	v_lshlrev_b64 v[8:9], 2, v[0:1]
	v_add_u32_e32 v4, 1, v4
	v_add_co_u32_e32 v8, vcc, s16, v8
	v_addc_co_u32_e32 v9, vcc, v5, v9, vcc
	global_store_dword v[8:9], v6, off
	v_lshlrev_b64 v[8:9], 3, v[0:1]
	v_add_u32_e32 v0, s20, v0
	v_add_co_u32_e32 v8, vcc, s18, v8
	v_addc_co_u32_e32 v9, vcc, v7, v9, vcc
	v_cmp_le_i32_e32 vcc, s3, v4
	s_or_b64 s[0:1], vcc, s[0:1]
	global_store_dwordx2 v[8:9], v[2:3], off
	s_andn2_b64 exec, exec, s[0:1]
	s_cbranch_execnz .LBB13_6
.LBB13_7:
	s_endpgm
	.section	.rodata,"a",@progbits
	.p2align	6, 0x0
	.amdhsa_kernel _ZN9rocsparseL30csr2ell_strided_batched_kernelILj512E21rocsparse_complex_numIfEliEEvT2_PKT0_lPKT1_PKS3_21rocsparse_index_base_S3_PS3_PS4_lSC_
		.amdhsa_group_segment_fixed_size 0
		.amdhsa_private_segment_fixed_size 0
		.amdhsa_kernarg_size 76
		.amdhsa_user_sgpr_count 6
		.amdhsa_user_sgpr_private_segment_buffer 1
		.amdhsa_user_sgpr_dispatch_ptr 0
		.amdhsa_user_sgpr_queue_ptr 0
		.amdhsa_user_sgpr_kernarg_segment_ptr 1
		.amdhsa_user_sgpr_dispatch_id 0
		.amdhsa_user_sgpr_flat_scratch_init 0
		.amdhsa_user_sgpr_private_segment_size 0
		.amdhsa_uses_dynamic_stack 0
		.amdhsa_system_sgpr_private_segment_wavefront_offset 0
		.amdhsa_system_sgpr_workgroup_id_x 1
		.amdhsa_system_sgpr_workgroup_id_y 1
		.amdhsa_system_sgpr_workgroup_id_z 0
		.amdhsa_system_sgpr_workgroup_info 0
		.amdhsa_system_vgpr_workitem_id 0
		.amdhsa_next_free_vgpr 18
		.amdhsa_next_free_sgpr 22
		.amdhsa_reserve_vcc 1
		.amdhsa_reserve_flat_scratch 0
		.amdhsa_float_round_mode_32 0
		.amdhsa_float_round_mode_16_64 0
		.amdhsa_float_denorm_mode_32 3
		.amdhsa_float_denorm_mode_16_64 3
		.amdhsa_dx10_clamp 1
		.amdhsa_ieee_mode 1
		.amdhsa_fp16_overflow 0
		.amdhsa_exception_fp_ieee_invalid_op 0
		.amdhsa_exception_fp_denorm_src 0
		.amdhsa_exception_fp_ieee_div_zero 0
		.amdhsa_exception_fp_ieee_overflow 0
		.amdhsa_exception_fp_ieee_underflow 0
		.amdhsa_exception_fp_ieee_inexact 0
		.amdhsa_exception_int_div_zero 0
	.end_amdhsa_kernel
	.section	.text._ZN9rocsparseL30csr2ell_strided_batched_kernelILj512E21rocsparse_complex_numIfEliEEvT2_PKT0_lPKT1_PKS3_21rocsparse_index_base_S3_PS3_PS4_lSC_,"axG",@progbits,_ZN9rocsparseL30csr2ell_strided_batched_kernelILj512E21rocsparse_complex_numIfEliEEvT2_PKT0_lPKT1_PKS3_21rocsparse_index_base_S3_PS3_PS4_lSC_,comdat
.Lfunc_end13:
	.size	_ZN9rocsparseL30csr2ell_strided_batched_kernelILj512E21rocsparse_complex_numIfEliEEvT2_PKT0_lPKT1_PKS3_21rocsparse_index_base_S3_PS3_PS4_lSC_, .Lfunc_end13-_ZN9rocsparseL30csr2ell_strided_batched_kernelILj512E21rocsparse_complex_numIfEliEEvT2_PKT0_lPKT1_PKS3_21rocsparse_index_base_S3_PS3_PS4_lSC_
                                        ; -- End function
	.set _ZN9rocsparseL30csr2ell_strided_batched_kernelILj512E21rocsparse_complex_numIfEliEEvT2_PKT0_lPKT1_PKS3_21rocsparse_index_base_S3_PS3_PS4_lSC_.num_vgpr, 18
	.set _ZN9rocsparseL30csr2ell_strided_batched_kernelILj512E21rocsparse_complex_numIfEliEEvT2_PKT0_lPKT1_PKS3_21rocsparse_index_base_S3_PS3_PS4_lSC_.num_agpr, 0
	.set _ZN9rocsparseL30csr2ell_strided_batched_kernelILj512E21rocsparse_complex_numIfEliEEvT2_PKT0_lPKT1_PKS3_21rocsparse_index_base_S3_PS3_PS4_lSC_.numbered_sgpr, 22
	.set _ZN9rocsparseL30csr2ell_strided_batched_kernelILj512E21rocsparse_complex_numIfEliEEvT2_PKT0_lPKT1_PKS3_21rocsparse_index_base_S3_PS3_PS4_lSC_.num_named_barrier, 0
	.set _ZN9rocsparseL30csr2ell_strided_batched_kernelILj512E21rocsparse_complex_numIfEliEEvT2_PKT0_lPKT1_PKS3_21rocsparse_index_base_S3_PS3_PS4_lSC_.private_seg_size, 0
	.set _ZN9rocsparseL30csr2ell_strided_batched_kernelILj512E21rocsparse_complex_numIfEliEEvT2_PKT0_lPKT1_PKS3_21rocsparse_index_base_S3_PS3_PS4_lSC_.uses_vcc, 1
	.set _ZN9rocsparseL30csr2ell_strided_batched_kernelILj512E21rocsparse_complex_numIfEliEEvT2_PKT0_lPKT1_PKS3_21rocsparse_index_base_S3_PS3_PS4_lSC_.uses_flat_scratch, 0
	.set _ZN9rocsparseL30csr2ell_strided_batched_kernelILj512E21rocsparse_complex_numIfEliEEvT2_PKT0_lPKT1_PKS3_21rocsparse_index_base_S3_PS3_PS4_lSC_.has_dyn_sized_stack, 0
	.set _ZN9rocsparseL30csr2ell_strided_batched_kernelILj512E21rocsparse_complex_numIfEliEEvT2_PKT0_lPKT1_PKS3_21rocsparse_index_base_S3_PS3_PS4_lSC_.has_recursion, 0
	.set _ZN9rocsparseL30csr2ell_strided_batched_kernelILj512E21rocsparse_complex_numIfEliEEvT2_PKT0_lPKT1_PKS3_21rocsparse_index_base_S3_PS3_PS4_lSC_.has_indirect_call, 0
	.section	.AMDGPU.csdata,"",@progbits
; Kernel info:
; codeLenInByte = 600
; TotalNumSgprs: 26
; NumVgprs: 18
; ScratchSize: 0
; MemoryBound: 0
; FloatMode: 240
; IeeeMode: 1
; LDSByteSize: 0 bytes/workgroup (compile time only)
; SGPRBlocks: 3
; VGPRBlocks: 4
; NumSGPRsForWavesPerEU: 26
; NumVGPRsForWavesPerEU: 18
; Occupancy: 10
; WaveLimiterHint : 0
; COMPUTE_PGM_RSRC2:SCRATCH_EN: 0
; COMPUTE_PGM_RSRC2:USER_SGPR: 6
; COMPUTE_PGM_RSRC2:TRAP_HANDLER: 0
; COMPUTE_PGM_RSRC2:TGID_X_EN: 1
; COMPUTE_PGM_RSRC2:TGID_Y_EN: 1
; COMPUTE_PGM_RSRC2:TGID_Z_EN: 0
; COMPUTE_PGM_RSRC2:TIDIG_COMP_CNT: 0
	.section	.text._ZN9rocsparseL30csr2ell_strided_batched_kernelILj512E21rocsparse_complex_numIfEilEEvT2_PKT0_lPKT1_PKS3_21rocsparse_index_base_S3_PS3_PS4_lSC_,"axG",@progbits,_ZN9rocsparseL30csr2ell_strided_batched_kernelILj512E21rocsparse_complex_numIfEilEEvT2_PKT0_lPKT1_PKS3_21rocsparse_index_base_S3_PS3_PS4_lSC_,comdat
	.globl	_ZN9rocsparseL30csr2ell_strided_batched_kernelILj512E21rocsparse_complex_numIfEilEEvT2_PKT0_lPKT1_PKS3_21rocsparse_index_base_S3_PS3_PS4_lSC_ ; -- Begin function _ZN9rocsparseL30csr2ell_strided_batched_kernelILj512E21rocsparse_complex_numIfEilEEvT2_PKT0_lPKT1_PKS3_21rocsparse_index_base_S3_PS3_PS4_lSC_
	.p2align	8
	.type	_ZN9rocsparseL30csr2ell_strided_batched_kernelILj512E21rocsparse_complex_numIfEilEEvT2_PKT0_lPKT1_PKS3_21rocsparse_index_base_S3_PS3_PS4_lSC_,@function
_ZN9rocsparseL30csr2ell_strided_batched_kernelILj512E21rocsparse_complex_numIfEilEEvT2_PKT0_lPKT1_PKS3_21rocsparse_index_base_S3_PS3_PS4_lSC_: ; @_ZN9rocsparseL30csr2ell_strided_batched_kernelILj512E21rocsparse_complex_numIfEilEEvT2_PKT0_lPKT1_PKS3_21rocsparse_index_base_S3_PS3_PS4_lSC_
; %bb.0:
	s_load_dwordx8 s[8:15], s[4:5], 0x0
	s_lshl_b32 s6, s6, 9
	v_or_b32_e32 v1, s6, v0
	v_mov_b32_e32 v2, 0
	s_waitcnt lgkmcnt(0)
	v_cmp_gt_i64_e32 vcc, s[8:9], v[1:2]
	s_and_saveexec_b64 s[0:1], vcc
	s_cbranch_execz .LBB14_7
; %bb.1:
	v_lshlrev_b64 v[2:3], 2, v[1:2]
	v_mov_b32_e32 v4, s15
	v_add_co_u32_e32 v2, vcc, s14, v2
	v_addc_co_u32_e32 v3, vcc, v4, v3, vcc
	global_load_dwordx2 v[4:5], v[2:3], off
	s_load_dwordx8 s[16:23], s[4:5], 0x30
	s_load_dwordx2 s[0:1], s[4:5], 0x20
	s_load_dword s2, s[4:5], 0x28
	s_waitcnt lgkmcnt(0)
	s_mul_i32 s3, s23, s7
	s_mul_hi_u32 s9, s22, s7
	s_mul_i32 s14, s22, s7
	s_add_i32 s15, s9, s3
	v_cmp_gt_i64_e64 s[24:25], s[16:17], 0
	s_lshl_b64 s[14:15], s[14:15], 3
	s_add_u32 s9, s20, s14
	s_addc_u32 s22, s21, s15
	s_mov_b64 s[14:15], 0
	s_waitcnt vmcnt(0)
	v_cmp_lt_i32_e32 vcc, v4, v5
	v_subrev_u32_e32 v3, s2, v4
	v_subrev_u32_e32 v8, s2, v5
	s_and_b64 s[24:25], s[24:25], vcc
	s_and_saveexec_b64 s[20:21], s[24:25]
	s_cbranch_execz .LBB14_4
; %bb.2:
	s_load_dword s3, s[4:5], 0x50
	v_ashrrev_i32_e32 v4, 31, v3
	v_lshlrev_b64 v[6:7], 3, v[3:4]
	v_mov_b32_e32 v2, s1
	v_add_co_u32_e32 v4, vcc, s0, v6
	s_waitcnt lgkmcnt(0)
	s_sub_u32 s23, s3, s2
	s_mul_i32 s0, s13, s7
	s_mul_hi_u32 s1, s12, s7
	s_subb_u32 s2, 0, 0
	s_add_i32 s1, s1, s0
	s_mul_i32 s0, s12, s7
	s_lshl_b64 s[0:1], s[0:1], 3
	s_add_u32 s0, s10, s0
	v_addc_co_u32_e32 v5, vcc, v2, v7, vcc
	s_addc_u32 s1, s11, s1
	v_mov_b32_e32 v2, s1
	v_add_co_u32_e32 v6, vcc, s0, v6
	v_addc_co_u32_e32 v7, vcc, v2, v7, vcc
	s_mov_b64 s[4:5], 1
	v_mov_b32_e32 v9, s2
	v_mov_b32_e32 v10, s19
.LBB14_3:                               ; =>This Inner Loop Header: Depth=1
	global_load_dwordx2 v[11:12], v[4:5], off
	v_ashrrev_i32_e32 v2, 31, v1
	v_lshlrev_b64 v[13:14], 3, v[1:2]
	v_add_u32_e32 v17, s4, v3
	v_add_co_u32_e32 v15, vcc, s18, v13
	v_addc_co_u32_e32 v16, vcc, v10, v14, vcc
	v_mov_b32_e32 v2, s22
	v_add_co_u32_e64 v13, s[2:3], s9, v13
	v_add_u32_e32 v1, s8, v1
	v_addc_co_u32_e64 v14, s[2:3], v2, v14, s[2:3]
	s_waitcnt vmcnt(0)
	v_add_co_u32_e32 v11, vcc, s23, v11
	v_addc_co_u32_e32 v12, vcc, v9, v12, vcc
	global_store_dwordx2 v[15:16], v[11:12], off
	global_load_dwordx2 v[11:12], v[6:7], off
	v_mov_b32_e32 v15, s16
	v_mov_b32_e32 v16, s17
	v_add_co_u32_e32 v4, vcc, 8, v4
	v_addc_co_u32_e32 v5, vcc, 0, v5, vcc
	v_cmp_ge_i64_e64 s[0:1], s[4:5], v[15:16]
	v_cmp_ge_i32_e32 vcc, v17, v8
	s_or_b64 s[0:1], vcc, s[0:1]
	s_add_u32 s4, s4, 1
	s_addc_u32 s5, s5, 0
	s_and_b64 s[0:1], exec, s[0:1]
	v_add_co_u32_e32 v6, vcc, 8, v6
	s_or_b64 s[14:15], s[0:1], s[14:15]
	v_addc_co_u32_e32 v7, vcc, 0, v7, vcc
	s_waitcnt vmcnt(0)
	global_store_dwordx2 v[13:14], v[11:12], off
	s_andn2_b64 exec, exec, s[14:15]
	s_cbranch_execnz .LBB14_3
.LBB14_4:
	s_or_b64 exec, exec, s[20:21]
	v_sub_u32_e32 v1, v8, v3
	v_ashrrev_i32_e32 v2, 31, v1
	v_cmp_gt_i64_e32 vcc, s[16:17], v[1:2]
	s_and_b64 exec, exec, vcc
	s_cbranch_execz .LBB14_7
; %bb.5:
	v_mul_lo_u32 v4, v1, s8
	v_mov_b32_e32 v3, -1
	v_mov_b32_e32 v7, 0
	s_mov_b64 s[0:1], 0
	v_mov_b32_e32 v9, s19
	v_add3_u32 v5, v0, v4, s6
	v_mov_b32_e32 v4, v3
	v_mov_b32_e32 v0, s22
	;; [unrolled: 1-line block ×3, first 2 shown]
.LBB14_6:                               ; =>This Inner Loop Header: Depth=1
	v_ashrrev_i32_e32 v6, 31, v5
	v_lshlrev_b64 v[10:11], 3, v[5:6]
	v_add_u32_e32 v5, s8, v5
	v_add_co_u32_e32 v12, vcc, s18, v10
	v_addc_co_u32_e32 v13, vcc, v9, v11, vcc
	v_add_co_u32_e32 v10, vcc, s9, v10
	v_addc_co_u32_e32 v11, vcc, v0, v11, vcc
	;; [unrolled: 2-line block ×3, first 2 shown]
	v_cmp_le_i64_e32 vcc, s[16:17], v[1:2]
	global_store_dwordx2 v[12:13], v[3:4], off
	s_or_b64 s[0:1], vcc, s[0:1]
	global_store_dwordx2 v[10:11], v[7:8], off
	s_andn2_b64 exec, exec, s[0:1]
	s_cbranch_execnz .LBB14_6
.LBB14_7:
	s_endpgm
	.section	.rodata,"a",@progbits
	.p2align	6, 0x0
	.amdhsa_kernel _ZN9rocsparseL30csr2ell_strided_batched_kernelILj512E21rocsparse_complex_numIfEilEEvT2_PKT0_lPKT1_PKS3_21rocsparse_index_base_S3_PS3_PS4_lSC_
		.amdhsa_group_segment_fixed_size 0
		.amdhsa_private_segment_fixed_size 0
		.amdhsa_kernarg_size 84
		.amdhsa_user_sgpr_count 6
		.amdhsa_user_sgpr_private_segment_buffer 1
		.amdhsa_user_sgpr_dispatch_ptr 0
		.amdhsa_user_sgpr_queue_ptr 0
		.amdhsa_user_sgpr_kernarg_segment_ptr 1
		.amdhsa_user_sgpr_dispatch_id 0
		.amdhsa_user_sgpr_flat_scratch_init 0
		.amdhsa_user_sgpr_private_segment_size 0
		.amdhsa_uses_dynamic_stack 0
		.amdhsa_system_sgpr_private_segment_wavefront_offset 0
		.amdhsa_system_sgpr_workgroup_id_x 1
		.amdhsa_system_sgpr_workgroup_id_y 1
		.amdhsa_system_sgpr_workgroup_id_z 0
		.amdhsa_system_sgpr_workgroup_info 0
		.amdhsa_system_vgpr_workitem_id 0
		.amdhsa_next_free_vgpr 18
		.amdhsa_next_free_sgpr 26
		.amdhsa_reserve_vcc 1
		.amdhsa_reserve_flat_scratch 0
		.amdhsa_float_round_mode_32 0
		.amdhsa_float_round_mode_16_64 0
		.amdhsa_float_denorm_mode_32 3
		.amdhsa_float_denorm_mode_16_64 3
		.amdhsa_dx10_clamp 1
		.amdhsa_ieee_mode 1
		.amdhsa_fp16_overflow 0
		.amdhsa_exception_fp_ieee_invalid_op 0
		.amdhsa_exception_fp_denorm_src 0
		.amdhsa_exception_fp_ieee_div_zero 0
		.amdhsa_exception_fp_ieee_overflow 0
		.amdhsa_exception_fp_ieee_underflow 0
		.amdhsa_exception_fp_ieee_inexact 0
		.amdhsa_exception_int_div_zero 0
	.end_amdhsa_kernel
	.section	.text._ZN9rocsparseL30csr2ell_strided_batched_kernelILj512E21rocsparse_complex_numIfEilEEvT2_PKT0_lPKT1_PKS3_21rocsparse_index_base_S3_PS3_PS4_lSC_,"axG",@progbits,_ZN9rocsparseL30csr2ell_strided_batched_kernelILj512E21rocsparse_complex_numIfEilEEvT2_PKT0_lPKT1_PKS3_21rocsparse_index_base_S3_PS3_PS4_lSC_,comdat
.Lfunc_end14:
	.size	_ZN9rocsparseL30csr2ell_strided_batched_kernelILj512E21rocsparse_complex_numIfEilEEvT2_PKT0_lPKT1_PKS3_21rocsparse_index_base_S3_PS3_PS4_lSC_, .Lfunc_end14-_ZN9rocsparseL30csr2ell_strided_batched_kernelILj512E21rocsparse_complex_numIfEilEEvT2_PKT0_lPKT1_PKS3_21rocsparse_index_base_S3_PS3_PS4_lSC_
                                        ; -- End function
	.set _ZN9rocsparseL30csr2ell_strided_batched_kernelILj512E21rocsparse_complex_numIfEilEEvT2_PKT0_lPKT1_PKS3_21rocsparse_index_base_S3_PS3_PS4_lSC_.num_vgpr, 18
	.set _ZN9rocsparseL30csr2ell_strided_batched_kernelILj512E21rocsparse_complex_numIfEilEEvT2_PKT0_lPKT1_PKS3_21rocsparse_index_base_S3_PS3_PS4_lSC_.num_agpr, 0
	.set _ZN9rocsparseL30csr2ell_strided_batched_kernelILj512E21rocsparse_complex_numIfEilEEvT2_PKT0_lPKT1_PKS3_21rocsparse_index_base_S3_PS3_PS4_lSC_.numbered_sgpr, 26
	.set _ZN9rocsparseL30csr2ell_strided_batched_kernelILj512E21rocsparse_complex_numIfEilEEvT2_PKT0_lPKT1_PKS3_21rocsparse_index_base_S3_PS3_PS4_lSC_.num_named_barrier, 0
	.set _ZN9rocsparseL30csr2ell_strided_batched_kernelILj512E21rocsparse_complex_numIfEilEEvT2_PKT0_lPKT1_PKS3_21rocsparse_index_base_S3_PS3_PS4_lSC_.private_seg_size, 0
	.set _ZN9rocsparseL30csr2ell_strided_batched_kernelILj512E21rocsparse_complex_numIfEilEEvT2_PKT0_lPKT1_PKS3_21rocsparse_index_base_S3_PS3_PS4_lSC_.uses_vcc, 1
	.set _ZN9rocsparseL30csr2ell_strided_batched_kernelILj512E21rocsparse_complex_numIfEilEEvT2_PKT0_lPKT1_PKS3_21rocsparse_index_base_S3_PS3_PS4_lSC_.uses_flat_scratch, 0
	.set _ZN9rocsparseL30csr2ell_strided_batched_kernelILj512E21rocsparse_complex_numIfEilEEvT2_PKT0_lPKT1_PKS3_21rocsparse_index_base_S3_PS3_PS4_lSC_.has_dyn_sized_stack, 0
	.set _ZN9rocsparseL30csr2ell_strided_batched_kernelILj512E21rocsparse_complex_numIfEilEEvT2_PKT0_lPKT1_PKS3_21rocsparse_index_base_S3_PS3_PS4_lSC_.has_recursion, 0
	.set _ZN9rocsparseL30csr2ell_strided_batched_kernelILj512E21rocsparse_complex_numIfEilEEvT2_PKT0_lPKT1_PKS3_21rocsparse_index_base_S3_PS3_PS4_lSC_.has_indirect_call, 0
	.section	.AMDGPU.csdata,"",@progbits
; Kernel info:
; codeLenInByte = 560
; TotalNumSgprs: 30
; NumVgprs: 18
; ScratchSize: 0
; MemoryBound: 0
; FloatMode: 240
; IeeeMode: 1
; LDSByteSize: 0 bytes/workgroup (compile time only)
; SGPRBlocks: 3
; VGPRBlocks: 4
; NumSGPRsForWavesPerEU: 30
; NumVGPRsForWavesPerEU: 18
; Occupancy: 10
; WaveLimiterHint : 0
; COMPUTE_PGM_RSRC2:SCRATCH_EN: 0
; COMPUTE_PGM_RSRC2:USER_SGPR: 6
; COMPUTE_PGM_RSRC2:TRAP_HANDLER: 0
; COMPUTE_PGM_RSRC2:TGID_X_EN: 1
; COMPUTE_PGM_RSRC2:TGID_Y_EN: 1
; COMPUTE_PGM_RSRC2:TGID_Z_EN: 0
; COMPUTE_PGM_RSRC2:TIDIG_COMP_CNT: 0
	.section	.text._ZN9rocsparseL30csr2ell_strided_batched_kernelILj512E21rocsparse_complex_numIfEllEEvT2_PKT0_lPKT1_PKS3_21rocsparse_index_base_S3_PS3_PS4_lSC_,"axG",@progbits,_ZN9rocsparseL30csr2ell_strided_batched_kernelILj512E21rocsparse_complex_numIfEllEEvT2_PKT0_lPKT1_PKS3_21rocsparse_index_base_S3_PS3_PS4_lSC_,comdat
	.globl	_ZN9rocsparseL30csr2ell_strided_batched_kernelILj512E21rocsparse_complex_numIfEllEEvT2_PKT0_lPKT1_PKS3_21rocsparse_index_base_S3_PS3_PS4_lSC_ ; -- Begin function _ZN9rocsparseL30csr2ell_strided_batched_kernelILj512E21rocsparse_complex_numIfEllEEvT2_PKT0_lPKT1_PKS3_21rocsparse_index_base_S3_PS3_PS4_lSC_
	.p2align	8
	.type	_ZN9rocsparseL30csr2ell_strided_batched_kernelILj512E21rocsparse_complex_numIfEllEEvT2_PKT0_lPKT1_PKS3_21rocsparse_index_base_S3_PS3_PS4_lSC_,@function
_ZN9rocsparseL30csr2ell_strided_batched_kernelILj512E21rocsparse_complex_numIfEllEEvT2_PKT0_lPKT1_PKS3_21rocsparse_index_base_S3_PS3_PS4_lSC_: ; @_ZN9rocsparseL30csr2ell_strided_batched_kernelILj512E21rocsparse_complex_numIfEllEEvT2_PKT0_lPKT1_PKS3_21rocsparse_index_base_S3_PS3_PS4_lSC_
; %bb.0:
	s_load_dwordx8 s[16:23], s[4:5], 0x0
	v_lshl_or_b32 v4, s6, 9, v0
	v_mov_b32_e32 v5, 0
	s_waitcnt lgkmcnt(0)
	v_cmp_gt_i64_e32 vcc, s[16:17], v[4:5]
	s_and_saveexec_b64 s[0:1], vcc
	s_cbranch_execz .LBB15_7
; %bb.1:
	v_lshlrev_b64 v[6:7], 3, v[4:5]
	v_mov_b32_e32 v1, s23
	v_add_co_u32_e32 v0, vcc, s22, v6
	v_addc_co_u32_e32 v1, vcc, v1, v7, vcc
	global_load_dwordx4 v[0:3], v[0:1], off
	s_load_dwordx8 s[8:15], s[4:5], 0x30
	s_load_dwordx2 s[22:23], s[4:5], 0x20
	s_load_dword s0, s[4:5], 0x28
	s_waitcnt lgkmcnt(0)
	s_mul_i32 s1, s15, s7
	s_mul_hi_u32 s3, s14, s7
	s_mul_i32 s2, s14, s7
	s_add_i32 s3, s3, s1
	s_lshl_b64 s[2:3], s[2:3], 3
	s_add_u32 s6, s12, s2
	s_addc_u32 s24, s13, s3
	v_cmp_gt_i64_e64 s[2:3], s[8:9], 0
	s_mov_b64 s[12:13], 0
	s_waitcnt vmcnt(0)
	v_subrev_co_u32_e32 v8, vcc, s0, v0
	v_subbrev_co_u32_e32 v11, vcc, 0, v1, vcc
	v_subrev_co_u32_e32 v1, vcc, s0, v2
	v_subbrev_co_u32_e32 v2, vcc, 0, v3, vcc
	v_ashrrev_i32_e32 v9, 31, v8
	v_cmp_gt_i64_e32 vcc, v[1:2], v[8:9]
	s_and_b64 s[2:3], s[2:3], vcc
	s_and_saveexec_b64 s[14:15], s[2:3]
	s_cbranch_execz .LBB15_4
; %bb.2:
	s_load_dword s1, s[4:5], 0x50
	s_mul_i32 s2, s21, s7
	s_mul_hi_u32 s3, s20, s7
	s_add_i32 s3, s3, s2
	s_mul_i32 s2, s20, s7
	s_lshl_b64 s[2:3], s[2:3], 3
	s_add_u32 s7, s18, s2
	s_addc_u32 s18, s19, s3
	v_subrev_u32_e32 v0, s0, v0
	s_waitcnt lgkmcnt(0)
	s_sub_u32 s19, s1, s0
	v_add_u32_e32 v0, 1, v0
	v_mov_b32_e32 v10, v9
	s_subb_u32 s20, 0, 0
	v_ashrrev_i32_e32 v3, 31, v0
	s_mov_b64 s[4:5], 1
	v_mov_b32_e32 v9, v8
	v_mov_b32_e32 v12, v8
.LBB15_3:                               ; =>This Inner Loop Header: Depth=1
	v_lshlrev_b64 v[9:10], 3, v[9:10]
	v_mov_b32_e32 v5, s23
	v_add_co_u32_e32 v13, vcc, s22, v9
	v_addc_co_u32_e32 v14, vcc, v5, v10, vcc
	global_load_dwordx2 v[13:14], v[13:14], off
	v_ashrrev_i32_e32 v5, 31, v4
	v_mov_b32_e32 v17, s18
	v_lshlrev_b64 v[15:16], 3, v[4:5]
	v_add_co_u32_e32 v9, vcc, s7, v9
	v_addc_co_u32_e32 v10, vcc, v17, v10, vcc
	v_mov_b32_e32 v18, s11
	v_add_co_u32_e32 v17, vcc, s10, v15
	v_addc_co_u32_e32 v18, vcc, v18, v16, vcc
	v_mov_b32_e32 v19, s20
	v_mov_b32_e32 v5, s24
	v_add_co_u32_e64 v15, s[2:3], s6, v15
	v_add_u32_e32 v4, s16, v4
	v_addc_co_u32_e64 v16, s[2:3], v5, v16, s[2:3]
	s_waitcnt vmcnt(0)
	v_add_co_u32_e32 v13, vcc, s19, v13
	v_addc_co_u32_e32 v14, vcc, v19, v14, vcc
	global_store_dwordx2 v[17:18], v[13:14], off
	global_load_dwordx2 v[13:14], v[9:10], off
	v_add_u32_e32 v9, 1, v12
	v_mov_b32_e32 v12, s5
	v_add_co_u32_e32 v19, vcc, s4, v0
	v_mov_b32_e32 v18, s9
	v_mov_b32_e32 v17, s8
	v_addc_co_u32_e32 v20, vcc, v3, v12, vcc
	v_cmp_ge_i64_e32 vcc, s[4:5], v[17:18]
	v_add_co_u32_e64 v17, s[0:1], -1, v19
	v_addc_co_u32_e64 v18, s[0:1], -1, v20, s[0:1]
	v_cmp_le_i64_e64 s[0:1], v[1:2], v[17:18]
	v_ashrrev_i32_e32 v10, 31, v9
	s_or_b64 s[0:1], s[0:1], vcc
	s_add_u32 s4, s4, 1
	s_addc_u32 s5, s5, 0
	s_and_b64 s[0:1], exec, s[0:1]
	v_mov_b32_e32 v12, v9
	s_or_b64 s[12:13], s[0:1], s[12:13]
	s_waitcnt vmcnt(0)
	global_store_dwordx2 v[15:16], v[13:14], off
	s_andn2_b64 exec, exec, s[12:13]
	s_cbranch_execnz .LBB15_3
.LBB15_4:
	s_or_b64 exec, exec, s[14:15]
	v_sub_co_u32_e32 v0, vcc, v1, v8
	v_subb_co_u32_e32 v1, vcc, v2, v11, vcc
	v_cmp_gt_i64_e32 vcc, s[8:9], v[0:1]
	s_and_b64 exec, exec, vcc
	s_cbranch_execz .LBB15_7
; %bb.5:
	v_mul_lo_u32 v4, s17, v0
	v_mul_lo_u32 v5, s16, v1
	v_mad_u64_u32 v[2:3], s[0:1], s16, v0, 0
	s_lshl_b64 s[2:3], s[16:17], 3
	s_mov_b64 s[4:5], 0
	v_add3_u32 v3, v3, v5, v4
	v_lshlrev_b64 v[2:3], 3, v[2:3]
	v_mov_b32_e32 v8, s11
	v_add_co_u32_e32 v6, vcc, v2, v6
	v_addc_co_u32_e32 v7, vcc, v3, v7, vcc
	v_mov_b32_e32 v2, -1
	v_mov_b32_e32 v9, s24
	v_mov_b32_e32 v4, 0
.LBB15_6:                               ; =>This Inner Loop Header: Depth=1
	v_add_co_u32_e32 v10, vcc, s10, v6
	v_addc_co_u32_e32 v11, vcc, v8, v7, vcc
	v_add_co_u32_e32 v12, vcc, s6, v6
	v_addc_co_u32_e32 v13, vcc, v9, v7, vcc
	;; [unrolled: 2-line block ×3, first 2 shown]
	v_cmp_le_i64_e64 s[0:1], s[8:9], v[0:1]
	v_mov_b32_e32 v14, s3
	v_add_co_u32_e32 v6, vcc, s2, v6
	v_mov_b32_e32 v3, v2
	v_mov_b32_e32 v5, v4
	s_or_b64 s[4:5], s[0:1], s[4:5]
	v_addc_co_u32_e32 v7, vcc, v7, v14, vcc
	global_store_dwordx2 v[10:11], v[2:3], off
	global_store_dwordx2 v[12:13], v[4:5], off
	s_andn2_b64 exec, exec, s[4:5]
	s_cbranch_execnz .LBB15_6
.LBB15_7:
	s_endpgm
	.section	.rodata,"a",@progbits
	.p2align	6, 0x0
	.amdhsa_kernel _ZN9rocsparseL30csr2ell_strided_batched_kernelILj512E21rocsparse_complex_numIfEllEEvT2_PKT0_lPKT1_PKS3_21rocsparse_index_base_S3_PS3_PS4_lSC_
		.amdhsa_group_segment_fixed_size 0
		.amdhsa_private_segment_fixed_size 0
		.amdhsa_kernarg_size 84
		.amdhsa_user_sgpr_count 6
		.amdhsa_user_sgpr_private_segment_buffer 1
		.amdhsa_user_sgpr_dispatch_ptr 0
		.amdhsa_user_sgpr_queue_ptr 0
		.amdhsa_user_sgpr_kernarg_segment_ptr 1
		.amdhsa_user_sgpr_dispatch_id 0
		.amdhsa_user_sgpr_flat_scratch_init 0
		.amdhsa_user_sgpr_private_segment_size 0
		.amdhsa_uses_dynamic_stack 0
		.amdhsa_system_sgpr_private_segment_wavefront_offset 0
		.amdhsa_system_sgpr_workgroup_id_x 1
		.amdhsa_system_sgpr_workgroup_id_y 1
		.amdhsa_system_sgpr_workgroup_id_z 0
		.amdhsa_system_sgpr_workgroup_info 0
		.amdhsa_system_vgpr_workitem_id 0
		.amdhsa_next_free_vgpr 21
		.amdhsa_next_free_sgpr 25
		.amdhsa_reserve_vcc 1
		.amdhsa_reserve_flat_scratch 0
		.amdhsa_float_round_mode_32 0
		.amdhsa_float_round_mode_16_64 0
		.amdhsa_float_denorm_mode_32 3
		.amdhsa_float_denorm_mode_16_64 3
		.amdhsa_dx10_clamp 1
		.amdhsa_ieee_mode 1
		.amdhsa_fp16_overflow 0
		.amdhsa_exception_fp_ieee_invalid_op 0
		.amdhsa_exception_fp_denorm_src 0
		.amdhsa_exception_fp_ieee_div_zero 0
		.amdhsa_exception_fp_ieee_overflow 0
		.amdhsa_exception_fp_ieee_underflow 0
		.amdhsa_exception_fp_ieee_inexact 0
		.amdhsa_exception_int_div_zero 0
	.end_amdhsa_kernel
	.section	.text._ZN9rocsparseL30csr2ell_strided_batched_kernelILj512E21rocsparse_complex_numIfEllEEvT2_PKT0_lPKT1_PKS3_21rocsparse_index_base_S3_PS3_PS4_lSC_,"axG",@progbits,_ZN9rocsparseL30csr2ell_strided_batched_kernelILj512E21rocsparse_complex_numIfEllEEvT2_PKT0_lPKT1_PKS3_21rocsparse_index_base_S3_PS3_PS4_lSC_,comdat
.Lfunc_end15:
	.size	_ZN9rocsparseL30csr2ell_strided_batched_kernelILj512E21rocsparse_complex_numIfEllEEvT2_PKT0_lPKT1_PKS3_21rocsparse_index_base_S3_PS3_PS4_lSC_, .Lfunc_end15-_ZN9rocsparseL30csr2ell_strided_batched_kernelILj512E21rocsparse_complex_numIfEllEEvT2_PKT0_lPKT1_PKS3_21rocsparse_index_base_S3_PS3_PS4_lSC_
                                        ; -- End function
	.set _ZN9rocsparseL30csr2ell_strided_batched_kernelILj512E21rocsparse_complex_numIfEllEEvT2_PKT0_lPKT1_PKS3_21rocsparse_index_base_S3_PS3_PS4_lSC_.num_vgpr, 21
	.set _ZN9rocsparseL30csr2ell_strided_batched_kernelILj512E21rocsparse_complex_numIfEllEEvT2_PKT0_lPKT1_PKS3_21rocsparse_index_base_S3_PS3_PS4_lSC_.num_agpr, 0
	.set _ZN9rocsparseL30csr2ell_strided_batched_kernelILj512E21rocsparse_complex_numIfEllEEvT2_PKT0_lPKT1_PKS3_21rocsparse_index_base_S3_PS3_PS4_lSC_.numbered_sgpr, 25
	.set _ZN9rocsparseL30csr2ell_strided_batched_kernelILj512E21rocsparse_complex_numIfEllEEvT2_PKT0_lPKT1_PKS3_21rocsparse_index_base_S3_PS3_PS4_lSC_.num_named_barrier, 0
	.set _ZN9rocsparseL30csr2ell_strided_batched_kernelILj512E21rocsparse_complex_numIfEllEEvT2_PKT0_lPKT1_PKS3_21rocsparse_index_base_S3_PS3_PS4_lSC_.private_seg_size, 0
	.set _ZN9rocsparseL30csr2ell_strided_batched_kernelILj512E21rocsparse_complex_numIfEllEEvT2_PKT0_lPKT1_PKS3_21rocsparse_index_base_S3_PS3_PS4_lSC_.uses_vcc, 1
	.set _ZN9rocsparseL30csr2ell_strided_batched_kernelILj512E21rocsparse_complex_numIfEllEEvT2_PKT0_lPKT1_PKS3_21rocsparse_index_base_S3_PS3_PS4_lSC_.uses_flat_scratch, 0
	.set _ZN9rocsparseL30csr2ell_strided_batched_kernelILj512E21rocsparse_complex_numIfEllEEvT2_PKT0_lPKT1_PKS3_21rocsparse_index_base_S3_PS3_PS4_lSC_.has_dyn_sized_stack, 0
	.set _ZN9rocsparseL30csr2ell_strided_batched_kernelILj512E21rocsparse_complex_numIfEllEEvT2_PKT0_lPKT1_PKS3_21rocsparse_index_base_S3_PS3_PS4_lSC_.has_recursion, 0
	.set _ZN9rocsparseL30csr2ell_strided_batched_kernelILj512E21rocsparse_complex_numIfEllEEvT2_PKT0_lPKT1_PKS3_21rocsparse_index_base_S3_PS3_PS4_lSC_.has_indirect_call, 0
	.section	.AMDGPU.csdata,"",@progbits
; Kernel info:
; codeLenInByte = 648
; TotalNumSgprs: 29
; NumVgprs: 21
; ScratchSize: 0
; MemoryBound: 0
; FloatMode: 240
; IeeeMode: 1
; LDSByteSize: 0 bytes/workgroup (compile time only)
; SGPRBlocks: 3
; VGPRBlocks: 5
; NumSGPRsForWavesPerEU: 29
; NumVGPRsForWavesPerEU: 21
; Occupancy: 10
; WaveLimiterHint : 0
; COMPUTE_PGM_RSRC2:SCRATCH_EN: 0
; COMPUTE_PGM_RSRC2:USER_SGPR: 6
; COMPUTE_PGM_RSRC2:TRAP_HANDLER: 0
; COMPUTE_PGM_RSRC2:TGID_X_EN: 1
; COMPUTE_PGM_RSRC2:TGID_Y_EN: 1
; COMPUTE_PGM_RSRC2:TGID_Z_EN: 0
; COMPUTE_PGM_RSRC2:TIDIG_COMP_CNT: 0
	.section	.text._ZN9rocsparseL30csr2ell_strided_batched_kernelILj512E21rocsparse_complex_numIdEiiEEvT2_PKT0_lPKT1_PKS3_21rocsparse_index_base_S3_PS3_PS4_lSC_,"axG",@progbits,_ZN9rocsparseL30csr2ell_strided_batched_kernelILj512E21rocsparse_complex_numIdEiiEEvT2_PKT0_lPKT1_PKS3_21rocsparse_index_base_S3_PS3_PS4_lSC_,comdat
	.globl	_ZN9rocsparseL30csr2ell_strided_batched_kernelILj512E21rocsparse_complex_numIdEiiEEvT2_PKT0_lPKT1_PKS3_21rocsparse_index_base_S3_PS3_PS4_lSC_ ; -- Begin function _ZN9rocsparseL30csr2ell_strided_batched_kernelILj512E21rocsparse_complex_numIdEiiEEvT2_PKT0_lPKT1_PKS3_21rocsparse_index_base_S3_PS3_PS4_lSC_
	.p2align	8
	.type	_ZN9rocsparseL30csr2ell_strided_batched_kernelILj512E21rocsparse_complex_numIdEiiEEvT2_PKT0_lPKT1_PKS3_21rocsparse_index_base_S3_PS3_PS4_lSC_,@function
_ZN9rocsparseL30csr2ell_strided_batched_kernelILj512E21rocsparse_complex_numIdEiiEEvT2_PKT0_lPKT1_PKS3_21rocsparse_index_base_S3_PS3_PS4_lSC_: ; @_ZN9rocsparseL30csr2ell_strided_batched_kernelILj512E21rocsparse_complex_numIdEiiEEvT2_PKT0_lPKT1_PKS3_21rocsparse_index_base_S3_PS3_PS4_lSC_
; %bb.0:
	s_load_dword s16, s[4:5], 0x0
	s_lshl_b32 s6, s6, 9
	v_or_b32_e32 v1, s6, v0
	s_waitcnt lgkmcnt(0)
	v_cmp_gt_i32_e32 vcc, s16, v1
	s_and_saveexec_b64 s[0:1], vcc
	s_cbranch_execz .LBB16_7
; %bb.1:
	s_load_dwordx8 s[8:15], s[4:5], 0x8
	v_ashrrev_i32_e32 v2, 31, v1
	v_lshlrev_b64 v[2:3], 2, v[1:2]
	s_waitcnt lgkmcnt(0)
	v_mov_b32_e32 v4, s13
	v_add_co_u32_e32 v2, vcc, s12, v2
	v_addc_co_u32_e32 v3, vcc, v4, v3, vcc
	global_load_dwordx2 v[4:5], v[2:3], off
	s_load_dwordx2 s[18:19], s[4:5], 0x40
	s_load_dwordx2 s[12:13], s[4:5], 0x28
	s_load_dwordx4 s[0:3], s[4:5], 0x30
	s_waitcnt lgkmcnt(0)
	s_mul_i32 s17, s19, s7
	s_mul_hi_u32 s19, s18, s7
	s_mul_i32 s18, s18, s7
	s_add_i32 s19, s19, s17
	s_lshl_b64 s[18:19], s[18:19], 4
	s_add_u32 s17, s2, s18
	s_addc_u32 s18, s3, s19
	s_cmp_gt_i32 s13, 0
	s_cselect_b64 s[2:3], -1, 0
	s_waitcnt vmcnt(0)
	v_cmp_lt_i32_e32 vcc, v4, v5
	v_subrev_u32_e32 v3, s12, v4
	v_subrev_u32_e32 v9, s12, v5
	s_and_b64 s[20:21], s[2:3], vcc
	s_and_saveexec_b64 s[2:3], s[20:21]
	s_cbranch_execz .LBB16_4
; %bb.2:
	s_load_dword s4, s[4:5], 0x48
	v_ashrrev_i32_e32 v4, 31, v3
	s_mul_hi_u32 s5, s10, s7
	v_lshlrev_b64 v[5:6], 2, v[3:4]
	v_mov_b32_e32 v2, s15
	s_waitcnt lgkmcnt(0)
	s_sub_i32 s12, s4, s12
	s_mul_i32 s4, s11, s7
	s_add_i32 s5, s5, s4
	s_mul_i32 s4, s10, s7
	s_lshl_b64 s[4:5], s[4:5], 4
	v_add_co_u32_e32 v5, vcc, s14, v5
	v_lshlrev_b64 v[7:8], 4, v[3:4]
	s_add_u32 s4, s8, s4
	v_addc_co_u32_e32 v6, vcc, v2, v6, vcc
	s_addc_u32 s5, s9, s5
	v_mov_b32_e32 v2, s5
	v_add_co_u32_e32 v7, vcc, s4, v7
	v_addc_co_u32_e32 v8, vcc, v2, v8, vcc
	s_mov_b32 s7, 1
	s_mov_b64 s[4:5], 0
	v_mov_b32_e32 v4, s1
.LBB16_3:                               ; =>This Inner Loop Header: Depth=1
	global_load_dword v12, v[5:6], off
	v_ashrrev_i32_e32 v2, 31, v1
	v_lshlrev_b64 v[10:11], 2, v[1:2]
	v_add_u32_e32 v17, s7, v3
	v_add_co_u32_e32 v10, vcc, s0, v10
	v_addc_co_u32_e32 v11, vcc, v4, v11, vcc
	v_add_co_u32_e32 v5, vcc, 4, v5
	s_cmp_ge_i32 s7, s13
	v_addc_co_u32_e32 v6, vcc, 0, v6, vcc
	v_lshlrev_b64 v[14:15], 4, v[1:2]
	v_cmp_ge_i32_e32 vcc, v17, v9
	s_cselect_b64 s[8:9], -1, 0
	v_mov_b32_e32 v16, s18
	s_or_b64 s[8:9], vcc, s[8:9]
	v_add_co_u32_e32 v14, vcc, s17, v14
	s_add_i32 s7, s7, 1
	v_addc_co_u32_e32 v15, vcc, v16, v15, vcc
	s_and_b64 s[8:9], exec, s[8:9]
	v_add_u32_e32 v1, s16, v1
	s_or_b64 s[4:5], s[8:9], s[4:5]
	s_waitcnt vmcnt(0)
	v_add_u32_e32 v12, s12, v12
	global_store_dword v[10:11], v12, off
	global_load_dwordx4 v[10:13], v[7:8], off
	v_add_co_u32_e32 v7, vcc, 16, v7
	v_addc_co_u32_e32 v8, vcc, 0, v8, vcc
	s_waitcnt vmcnt(0)
	global_store_dwordx4 v[14:15], v[10:13], off
	s_andn2_b64 exec, exec, s[4:5]
	s_cbranch_execnz .LBB16_3
.LBB16_4:
	s_or_b64 exec, exec, s[2:3]
	v_sub_u32_e32 v6, v9, v3
	v_cmp_gt_i32_e32 vcc, s13, v6
	s_and_b64 exec, exec, vcc
	s_cbranch_execz .LBB16_7
; %bb.5:
	v_mul_lo_u32 v1, s16, v6
	s_mov_b64 s[2:3], 0
	v_mov_b32_e32 v7, s1
	v_mov_b32_e32 v8, -1
	v_add3_u32 v4, v0, v1, s6
	v_mov_b32_e32 v0, 0
	v_mov_b32_e32 v9, s18
	;; [unrolled: 1-line block ×5, first 2 shown]
.LBB16_6:                               ; =>This Inner Loop Header: Depth=1
	v_ashrrev_i32_e32 v5, 31, v4
	v_lshlrev_b64 v[10:11], 2, v[4:5]
	v_add_u32_e32 v6, 1, v6
	v_add_co_u32_e32 v10, vcc, s0, v10
	v_addc_co_u32_e32 v11, vcc, v7, v11, vcc
	global_store_dword v[10:11], v8, off
	v_lshlrev_b64 v[10:11], 4, v[4:5]
	v_add_u32_e32 v4, s16, v4
	v_add_co_u32_e32 v10, vcc, s17, v10
	v_addc_co_u32_e32 v11, vcc, v9, v11, vcc
	v_cmp_le_i32_e32 vcc, s13, v6
	s_or_b64 s[2:3], vcc, s[2:3]
	global_store_dwordx4 v[10:11], v[0:3], off
	s_andn2_b64 exec, exec, s[2:3]
	s_cbranch_execnz .LBB16_6
.LBB16_7:
	s_endpgm
	.section	.rodata,"a",@progbits
	.p2align	6, 0x0
	.amdhsa_kernel _ZN9rocsparseL30csr2ell_strided_batched_kernelILj512E21rocsparse_complex_numIdEiiEEvT2_PKT0_lPKT1_PKS3_21rocsparse_index_base_S3_PS3_PS4_lSC_
		.amdhsa_group_segment_fixed_size 0
		.amdhsa_private_segment_fixed_size 0
		.amdhsa_kernarg_size 76
		.amdhsa_user_sgpr_count 6
		.amdhsa_user_sgpr_private_segment_buffer 1
		.amdhsa_user_sgpr_dispatch_ptr 0
		.amdhsa_user_sgpr_queue_ptr 0
		.amdhsa_user_sgpr_kernarg_segment_ptr 1
		.amdhsa_user_sgpr_dispatch_id 0
		.amdhsa_user_sgpr_flat_scratch_init 0
		.amdhsa_user_sgpr_private_segment_size 0
		.amdhsa_uses_dynamic_stack 0
		.amdhsa_system_sgpr_private_segment_wavefront_offset 0
		.amdhsa_system_sgpr_workgroup_id_x 1
		.amdhsa_system_sgpr_workgroup_id_y 1
		.amdhsa_system_sgpr_workgroup_id_z 0
		.amdhsa_system_sgpr_workgroup_info 0
		.amdhsa_system_vgpr_workitem_id 0
		.amdhsa_next_free_vgpr 18
		.amdhsa_next_free_sgpr 22
		.amdhsa_reserve_vcc 1
		.amdhsa_reserve_flat_scratch 0
		.amdhsa_float_round_mode_32 0
		.amdhsa_float_round_mode_16_64 0
		.amdhsa_float_denorm_mode_32 3
		.amdhsa_float_denorm_mode_16_64 3
		.amdhsa_dx10_clamp 1
		.amdhsa_ieee_mode 1
		.amdhsa_fp16_overflow 0
		.amdhsa_exception_fp_ieee_invalid_op 0
		.amdhsa_exception_fp_denorm_src 0
		.amdhsa_exception_fp_ieee_div_zero 0
		.amdhsa_exception_fp_ieee_overflow 0
		.amdhsa_exception_fp_ieee_underflow 0
		.amdhsa_exception_fp_ieee_inexact 0
		.amdhsa_exception_int_div_zero 0
	.end_amdhsa_kernel
	.section	.text._ZN9rocsparseL30csr2ell_strided_batched_kernelILj512E21rocsparse_complex_numIdEiiEEvT2_PKT0_lPKT1_PKS3_21rocsparse_index_base_S3_PS3_PS4_lSC_,"axG",@progbits,_ZN9rocsparseL30csr2ell_strided_batched_kernelILj512E21rocsparse_complex_numIdEiiEEvT2_PKT0_lPKT1_PKS3_21rocsparse_index_base_S3_PS3_PS4_lSC_,comdat
.Lfunc_end16:
	.size	_ZN9rocsparseL30csr2ell_strided_batched_kernelILj512E21rocsparse_complex_numIdEiiEEvT2_PKT0_lPKT1_PKS3_21rocsparse_index_base_S3_PS3_PS4_lSC_, .Lfunc_end16-_ZN9rocsparseL30csr2ell_strided_batched_kernelILj512E21rocsparse_complex_numIdEiiEEvT2_PKT0_lPKT1_PKS3_21rocsparse_index_base_S3_PS3_PS4_lSC_
                                        ; -- End function
	.set _ZN9rocsparseL30csr2ell_strided_batched_kernelILj512E21rocsparse_complex_numIdEiiEEvT2_PKT0_lPKT1_PKS3_21rocsparse_index_base_S3_PS3_PS4_lSC_.num_vgpr, 18
	.set _ZN9rocsparseL30csr2ell_strided_batched_kernelILj512E21rocsparse_complex_numIdEiiEEvT2_PKT0_lPKT1_PKS3_21rocsparse_index_base_S3_PS3_PS4_lSC_.num_agpr, 0
	.set _ZN9rocsparseL30csr2ell_strided_batched_kernelILj512E21rocsparse_complex_numIdEiiEEvT2_PKT0_lPKT1_PKS3_21rocsparse_index_base_S3_PS3_PS4_lSC_.numbered_sgpr, 22
	.set _ZN9rocsparseL30csr2ell_strided_batched_kernelILj512E21rocsparse_complex_numIdEiiEEvT2_PKT0_lPKT1_PKS3_21rocsparse_index_base_S3_PS3_PS4_lSC_.num_named_barrier, 0
	.set _ZN9rocsparseL30csr2ell_strided_batched_kernelILj512E21rocsparse_complex_numIdEiiEEvT2_PKT0_lPKT1_PKS3_21rocsparse_index_base_S3_PS3_PS4_lSC_.private_seg_size, 0
	.set _ZN9rocsparseL30csr2ell_strided_batched_kernelILj512E21rocsparse_complex_numIdEiiEEvT2_PKT0_lPKT1_PKS3_21rocsparse_index_base_S3_PS3_PS4_lSC_.uses_vcc, 1
	.set _ZN9rocsparseL30csr2ell_strided_batched_kernelILj512E21rocsparse_complex_numIdEiiEEvT2_PKT0_lPKT1_PKS3_21rocsparse_index_base_S3_PS3_PS4_lSC_.uses_flat_scratch, 0
	.set _ZN9rocsparseL30csr2ell_strided_batched_kernelILj512E21rocsparse_complex_numIdEiiEEvT2_PKT0_lPKT1_PKS3_21rocsparse_index_base_S3_PS3_PS4_lSC_.has_dyn_sized_stack, 0
	.set _ZN9rocsparseL30csr2ell_strided_batched_kernelILj512E21rocsparse_complex_numIdEiiEEvT2_PKT0_lPKT1_PKS3_21rocsparse_index_base_S3_PS3_PS4_lSC_.has_recursion, 0
	.set _ZN9rocsparseL30csr2ell_strided_batched_kernelILj512E21rocsparse_complex_numIdEiiEEvT2_PKT0_lPKT1_PKS3_21rocsparse_index_base_S3_PS3_PS4_lSC_.has_indirect_call, 0
	.section	.AMDGPU.csdata,"",@progbits
; Kernel info:
; codeLenInByte = 560
; TotalNumSgprs: 26
; NumVgprs: 18
; ScratchSize: 0
; MemoryBound: 0
; FloatMode: 240
; IeeeMode: 1
; LDSByteSize: 0 bytes/workgroup (compile time only)
; SGPRBlocks: 3
; VGPRBlocks: 4
; NumSGPRsForWavesPerEU: 26
; NumVGPRsForWavesPerEU: 18
; Occupancy: 10
; WaveLimiterHint : 0
; COMPUTE_PGM_RSRC2:SCRATCH_EN: 0
; COMPUTE_PGM_RSRC2:USER_SGPR: 6
; COMPUTE_PGM_RSRC2:TRAP_HANDLER: 0
; COMPUTE_PGM_RSRC2:TGID_X_EN: 1
; COMPUTE_PGM_RSRC2:TGID_Y_EN: 1
; COMPUTE_PGM_RSRC2:TGID_Z_EN: 0
; COMPUTE_PGM_RSRC2:TIDIG_COMP_CNT: 0
	.section	.text._ZN9rocsparseL30csr2ell_strided_batched_kernelILj512E21rocsparse_complex_numIdEliEEvT2_PKT0_lPKT1_PKS3_21rocsparse_index_base_S3_PS3_PS4_lSC_,"axG",@progbits,_ZN9rocsparseL30csr2ell_strided_batched_kernelILj512E21rocsparse_complex_numIdEliEEvT2_PKT0_lPKT1_PKS3_21rocsparse_index_base_S3_PS3_PS4_lSC_,comdat
	.globl	_ZN9rocsparseL30csr2ell_strided_batched_kernelILj512E21rocsparse_complex_numIdEliEEvT2_PKT0_lPKT1_PKS3_21rocsparse_index_base_S3_PS3_PS4_lSC_ ; -- Begin function _ZN9rocsparseL30csr2ell_strided_batched_kernelILj512E21rocsparse_complex_numIdEliEEvT2_PKT0_lPKT1_PKS3_21rocsparse_index_base_S3_PS3_PS4_lSC_
	.p2align	8
	.type	_ZN9rocsparseL30csr2ell_strided_batched_kernelILj512E21rocsparse_complex_numIdEliEEvT2_PKT0_lPKT1_PKS3_21rocsparse_index_base_S3_PS3_PS4_lSC_,@function
_ZN9rocsparseL30csr2ell_strided_batched_kernelILj512E21rocsparse_complex_numIdEliEEvT2_PKT0_lPKT1_PKS3_21rocsparse_index_base_S3_PS3_PS4_lSC_: ; @_ZN9rocsparseL30csr2ell_strided_batched_kernelILj512E21rocsparse_complex_numIdEliEEvT2_PKT0_lPKT1_PKS3_21rocsparse_index_base_S3_PS3_PS4_lSC_
; %bb.0:
	s_load_dword s20, s[4:5], 0x0
	s_lshl_b32 s21, s6, 9
	v_or_b32_e32 v5, s21, v0
	s_waitcnt lgkmcnt(0)
	v_cmp_gt_i32_e32 vcc, s20, v5
	s_and_saveexec_b64 s[0:1], vcc
	s_cbranch_execz .LBB17_7
; %bb.1:
	s_load_dwordx8 s[8:15], s[4:5], 0x8
	v_ashrrev_i32_e32 v6, 31, v5
	v_lshlrev_b64 v[1:2], 3, v[5:6]
	s_waitcnt lgkmcnt(0)
	v_mov_b32_e32 v3, s13
	v_add_co_u32_e32 v1, vcc, s12, v1
	v_addc_co_u32_e32 v2, vcc, v3, v2, vcc
	global_load_dwordx4 v[1:4], v[1:2], off
	s_load_dwordx2 s[0:1], s[4:5], 0x40
	s_load_dwordx2 s[2:3], s[4:5], 0x28
	s_load_dwordx4 s[16:19], s[4:5], 0x30
	s_waitcnt lgkmcnt(0)
	s_mul_i32 s1, s1, s7
	s_mul_hi_u32 s6, s0, s7
	s_mul_i32 s0, s0, s7
	s_add_i32 s1, s6, s1
	s_lshl_b64 s[0:1], s[0:1], 4
	s_add_u32 s18, s18, s0
	s_addc_u32 s19, s19, s1
	s_cmp_gt_i32 s3, 0
	s_cselect_b64 s[0:1], -1, 0
	s_waitcnt vmcnt(0)
	v_subrev_co_u32_e32 v2, vcc, s2, v1
	v_subrev_co_u32_e32 v7, vcc, s2, v3
	v_subbrev_co_u32_e32 v8, vcc, 0, v4, vcc
	v_ashrrev_i32_e32 v3, 31, v2
	v_cmp_gt_i64_e32 vcc, v[7:8], v[2:3]
	s_and_b64 s[0:1], s[0:1], vcc
	s_and_saveexec_b64 s[12:13], s[0:1]
	s_cbranch_execz .LBB17_4
; %bb.2:
	s_load_dword s4, s[4:5], 0x48
	s_mul_i32 s0, s11, s7
	s_mul_hi_u32 s1, s10, s7
	s_add_i32 s1, s1, s0
	s_mul_i32 s0, s10, s7
	s_lshl_b64 s[0:1], s[0:1], 4
	v_subrev_u32_e32 v1, s2, v1
	s_add_u32 s8, s8, s0
	v_add_u32_e32 v1, 1, v1
	v_mov_b32_e32 v4, v3
	s_addc_u32 s9, s9, s1
	s_waitcnt lgkmcnt(0)
	s_sub_i32 s10, s4, s2
	v_ashrrev_i32_e32 v9, 31, v1
	s_mov_b64 s[4:5], 0
	s_mov_b64 s[6:7], 0
	v_mov_b32_e32 v3, v2
	v_mov_b32_e32 v10, v2
.LBB17_3:                               ; =>This Inner Loop Header: Depth=1
	v_lshlrev_b64 v[11:12], 2, v[3:4]
	v_mov_b32_e32 v6, s15
	v_add_co_u32_e32 v11, vcc, s14, v11
	v_addc_co_u32_e32 v12, vcc, v6, v12, vcc
	global_load_dword v13, v[11:12], off
	v_lshlrev_b64 v[3:4], 4, v[3:4]
	v_ashrrev_i32_e32 v6, 31, v5
	v_mov_b32_e32 v15, s9
	v_lshlrev_b64 v[11:12], 2, v[5:6]
	v_add_co_u32_e32 v3, vcc, s8, v3
	v_addc_co_u32_e32 v4, vcc, v15, v4, vcc
	v_mov_b32_e32 v14, s17
	v_add_co_u32_e32 v11, vcc, s16, v11
	v_addc_co_u32_e32 v12, vcc, v14, v12, vcc
	s_add_u32 s0, s6, 1
	v_add_co_u32_e32 v15, vcc, s6, v1
	v_lshlrev_b64 v[17:18], 4, v[5:6]
	s_addc_u32 s1, s7, 0
	v_mov_b32_e32 v19, s19
	s_cmp_ge_i32 s0, s3
	v_add_u32_e32 v5, s20, v5
	s_waitcnt vmcnt(0)
	v_add_u32_e32 v13, s10, v13
	global_store_dword v[11:12], v13, off
	global_load_dwordx4 v[11:14], v[3:4], off
	v_add_u32_e32 v3, 1, v10
	v_mov_b32_e32 v10, s7
	v_addc_co_u32_e32 v16, vcc, v9, v10, vcc
	v_cmp_le_i64_e32 vcc, v[7:8], v[15:16]
	s_mov_b64 s[6:7], s[0:1]
	v_add_co_u32_e64 v15, s[0:1], s18, v17
	v_addc_co_u32_e64 v16, s[0:1], v19, v18, s[0:1]
	s_cselect_b64 s[0:1], -1, 0
	s_or_b64 s[0:1], vcc, s[0:1]
	s_and_b64 s[0:1], exec, s[0:1]
	v_ashrrev_i32_e32 v4, 31, v3
	v_mov_b32_e32 v10, v3
	s_or_b64 s[4:5], s[0:1], s[4:5]
	s_waitcnt vmcnt(0)
	global_store_dwordx4 v[15:16], v[11:14], off
	s_andn2_b64 exec, exec, s[4:5]
	s_cbranch_execnz .LBB17_3
.LBB17_4:
	s_or_b64 exec, exec, s[12:13]
	v_sub_u32_e32 v6, v7, v2
	v_cmp_gt_i32_e32 vcc, s3, v6
	s_and_b64 exec, exec, vcc
	s_cbranch_execz .LBB17_7
; %bb.5:
	v_mul_lo_u32 v1, s20, v6
	s_mov_b64 s[0:1], 0
	v_mov_b32_e32 v7, s17
	v_mov_b32_e32 v8, -1
	v_add3_u32 v4, v0, v1, s21
	v_mov_b32_e32 v0, 0
	v_mov_b32_e32 v9, s19
	;; [unrolled: 1-line block ×5, first 2 shown]
.LBB17_6:                               ; =>This Inner Loop Header: Depth=1
	v_ashrrev_i32_e32 v5, 31, v4
	v_lshlrev_b64 v[10:11], 2, v[4:5]
	v_add_u32_e32 v6, 1, v6
	v_add_co_u32_e32 v10, vcc, s16, v10
	v_addc_co_u32_e32 v11, vcc, v7, v11, vcc
	global_store_dword v[10:11], v8, off
	v_lshlrev_b64 v[10:11], 4, v[4:5]
	v_add_u32_e32 v4, s20, v4
	v_add_co_u32_e32 v10, vcc, s18, v10
	v_addc_co_u32_e32 v11, vcc, v9, v11, vcc
	v_cmp_le_i32_e32 vcc, s3, v6
	s_or_b64 s[0:1], vcc, s[0:1]
	global_store_dwordx4 v[10:11], v[0:3], off
	s_andn2_b64 exec, exec, s[0:1]
	s_cbranch_execnz .LBB17_6
.LBB17_7:
	s_endpgm
	.section	.rodata,"a",@progbits
	.p2align	6, 0x0
	.amdhsa_kernel _ZN9rocsparseL30csr2ell_strided_batched_kernelILj512E21rocsparse_complex_numIdEliEEvT2_PKT0_lPKT1_PKS3_21rocsparse_index_base_S3_PS3_PS4_lSC_
		.amdhsa_group_segment_fixed_size 0
		.amdhsa_private_segment_fixed_size 0
		.amdhsa_kernarg_size 76
		.amdhsa_user_sgpr_count 6
		.amdhsa_user_sgpr_private_segment_buffer 1
		.amdhsa_user_sgpr_dispatch_ptr 0
		.amdhsa_user_sgpr_queue_ptr 0
		.amdhsa_user_sgpr_kernarg_segment_ptr 1
		.amdhsa_user_sgpr_dispatch_id 0
		.amdhsa_user_sgpr_flat_scratch_init 0
		.amdhsa_user_sgpr_private_segment_size 0
		.amdhsa_uses_dynamic_stack 0
		.amdhsa_system_sgpr_private_segment_wavefront_offset 0
		.amdhsa_system_sgpr_workgroup_id_x 1
		.amdhsa_system_sgpr_workgroup_id_y 1
		.amdhsa_system_sgpr_workgroup_id_z 0
		.amdhsa_system_sgpr_workgroup_info 0
		.amdhsa_system_vgpr_workitem_id 0
		.amdhsa_next_free_vgpr 20
		.amdhsa_next_free_sgpr 22
		.amdhsa_reserve_vcc 1
		.amdhsa_reserve_flat_scratch 0
		.amdhsa_float_round_mode_32 0
		.amdhsa_float_round_mode_16_64 0
		.amdhsa_float_denorm_mode_32 3
		.amdhsa_float_denorm_mode_16_64 3
		.amdhsa_dx10_clamp 1
		.amdhsa_ieee_mode 1
		.amdhsa_fp16_overflow 0
		.amdhsa_exception_fp_ieee_invalid_op 0
		.amdhsa_exception_fp_denorm_src 0
		.amdhsa_exception_fp_ieee_div_zero 0
		.amdhsa_exception_fp_ieee_overflow 0
		.amdhsa_exception_fp_ieee_underflow 0
		.amdhsa_exception_fp_ieee_inexact 0
		.amdhsa_exception_int_div_zero 0
	.end_amdhsa_kernel
	.section	.text._ZN9rocsparseL30csr2ell_strided_batched_kernelILj512E21rocsparse_complex_numIdEliEEvT2_PKT0_lPKT1_PKS3_21rocsparse_index_base_S3_PS3_PS4_lSC_,"axG",@progbits,_ZN9rocsparseL30csr2ell_strided_batched_kernelILj512E21rocsparse_complex_numIdEliEEvT2_PKT0_lPKT1_PKS3_21rocsparse_index_base_S3_PS3_PS4_lSC_,comdat
.Lfunc_end17:
	.size	_ZN9rocsparseL30csr2ell_strided_batched_kernelILj512E21rocsparse_complex_numIdEliEEvT2_PKT0_lPKT1_PKS3_21rocsparse_index_base_S3_PS3_PS4_lSC_, .Lfunc_end17-_ZN9rocsparseL30csr2ell_strided_batched_kernelILj512E21rocsparse_complex_numIdEliEEvT2_PKT0_lPKT1_PKS3_21rocsparse_index_base_S3_PS3_PS4_lSC_
                                        ; -- End function
	.set _ZN9rocsparseL30csr2ell_strided_batched_kernelILj512E21rocsparse_complex_numIdEliEEvT2_PKT0_lPKT1_PKS3_21rocsparse_index_base_S3_PS3_PS4_lSC_.num_vgpr, 20
	.set _ZN9rocsparseL30csr2ell_strided_batched_kernelILj512E21rocsparse_complex_numIdEliEEvT2_PKT0_lPKT1_PKS3_21rocsparse_index_base_S3_PS3_PS4_lSC_.num_agpr, 0
	.set _ZN9rocsparseL30csr2ell_strided_batched_kernelILj512E21rocsparse_complex_numIdEliEEvT2_PKT0_lPKT1_PKS3_21rocsparse_index_base_S3_PS3_PS4_lSC_.numbered_sgpr, 22
	.set _ZN9rocsparseL30csr2ell_strided_batched_kernelILj512E21rocsparse_complex_numIdEliEEvT2_PKT0_lPKT1_PKS3_21rocsparse_index_base_S3_PS3_PS4_lSC_.num_named_barrier, 0
	.set _ZN9rocsparseL30csr2ell_strided_batched_kernelILj512E21rocsparse_complex_numIdEliEEvT2_PKT0_lPKT1_PKS3_21rocsparse_index_base_S3_PS3_PS4_lSC_.private_seg_size, 0
	.set _ZN9rocsparseL30csr2ell_strided_batched_kernelILj512E21rocsparse_complex_numIdEliEEvT2_PKT0_lPKT1_PKS3_21rocsparse_index_base_S3_PS3_PS4_lSC_.uses_vcc, 1
	.set _ZN9rocsparseL30csr2ell_strided_batched_kernelILj512E21rocsparse_complex_numIdEliEEvT2_PKT0_lPKT1_PKS3_21rocsparse_index_base_S3_PS3_PS4_lSC_.uses_flat_scratch, 0
	.set _ZN9rocsparseL30csr2ell_strided_batched_kernelILj512E21rocsparse_complex_numIdEliEEvT2_PKT0_lPKT1_PKS3_21rocsparse_index_base_S3_PS3_PS4_lSC_.has_dyn_sized_stack, 0
	.set _ZN9rocsparseL30csr2ell_strided_batched_kernelILj512E21rocsparse_complex_numIdEliEEvT2_PKT0_lPKT1_PKS3_21rocsparse_index_base_S3_PS3_PS4_lSC_.has_recursion, 0
	.set _ZN9rocsparseL30csr2ell_strided_batched_kernelILj512E21rocsparse_complex_numIdEliEEvT2_PKT0_lPKT1_PKS3_21rocsparse_index_base_S3_PS3_PS4_lSC_.has_indirect_call, 0
	.section	.AMDGPU.csdata,"",@progbits
; Kernel info:
; codeLenInByte = 608
; TotalNumSgprs: 26
; NumVgprs: 20
; ScratchSize: 0
; MemoryBound: 0
; FloatMode: 240
; IeeeMode: 1
; LDSByteSize: 0 bytes/workgroup (compile time only)
; SGPRBlocks: 3
; VGPRBlocks: 4
; NumSGPRsForWavesPerEU: 26
; NumVGPRsForWavesPerEU: 20
; Occupancy: 10
; WaveLimiterHint : 0
; COMPUTE_PGM_RSRC2:SCRATCH_EN: 0
; COMPUTE_PGM_RSRC2:USER_SGPR: 6
; COMPUTE_PGM_RSRC2:TRAP_HANDLER: 0
; COMPUTE_PGM_RSRC2:TGID_X_EN: 1
; COMPUTE_PGM_RSRC2:TGID_Y_EN: 1
; COMPUTE_PGM_RSRC2:TGID_Z_EN: 0
; COMPUTE_PGM_RSRC2:TIDIG_COMP_CNT: 0
	.section	.text._ZN9rocsparseL30csr2ell_strided_batched_kernelILj512E21rocsparse_complex_numIdEilEEvT2_PKT0_lPKT1_PKS3_21rocsparse_index_base_S3_PS3_PS4_lSC_,"axG",@progbits,_ZN9rocsparseL30csr2ell_strided_batched_kernelILj512E21rocsparse_complex_numIdEilEEvT2_PKT0_lPKT1_PKS3_21rocsparse_index_base_S3_PS3_PS4_lSC_,comdat
	.globl	_ZN9rocsparseL30csr2ell_strided_batched_kernelILj512E21rocsparse_complex_numIdEilEEvT2_PKT0_lPKT1_PKS3_21rocsparse_index_base_S3_PS3_PS4_lSC_ ; -- Begin function _ZN9rocsparseL30csr2ell_strided_batched_kernelILj512E21rocsparse_complex_numIdEilEEvT2_PKT0_lPKT1_PKS3_21rocsparse_index_base_S3_PS3_PS4_lSC_
	.p2align	8
	.type	_ZN9rocsparseL30csr2ell_strided_batched_kernelILj512E21rocsparse_complex_numIdEilEEvT2_PKT0_lPKT1_PKS3_21rocsparse_index_base_S3_PS3_PS4_lSC_,@function
_ZN9rocsparseL30csr2ell_strided_batched_kernelILj512E21rocsparse_complex_numIdEilEEvT2_PKT0_lPKT1_PKS3_21rocsparse_index_base_S3_PS3_PS4_lSC_: ; @_ZN9rocsparseL30csr2ell_strided_batched_kernelILj512E21rocsparse_complex_numIdEilEEvT2_PKT0_lPKT1_PKS3_21rocsparse_index_base_S3_PS3_PS4_lSC_
; %bb.0:
	s_load_dwordx8 s[8:15], s[4:5], 0x0
	s_lshl_b32 s6, s6, 9
	v_or_b32_e32 v1, s6, v0
	v_mov_b32_e32 v2, 0
	s_waitcnt lgkmcnt(0)
	v_cmp_gt_i64_e32 vcc, s[8:9], v[1:2]
	s_and_saveexec_b64 s[0:1], vcc
	s_cbranch_execz .LBB18_7
; %bb.1:
	v_lshlrev_b64 v[2:3], 2, v[1:2]
	v_mov_b32_e32 v4, s15
	v_add_co_u32_e32 v2, vcc, s14, v2
	v_addc_co_u32_e32 v3, vcc, v4, v3, vcc
	global_load_dwordx2 v[4:5], v[2:3], off
	s_load_dwordx8 s[16:23], s[4:5], 0x30
	s_load_dwordx2 s[0:1], s[4:5], 0x20
	s_load_dword s2, s[4:5], 0x28
	s_waitcnt lgkmcnt(0)
	s_mul_i32 s3, s23, s7
	s_mul_hi_u32 s9, s22, s7
	s_mul_i32 s14, s22, s7
	s_add_i32 s15, s9, s3
	v_cmp_gt_i64_e64 s[24:25], s[16:17], 0
	s_lshl_b64 s[14:15], s[14:15], 4
	s_add_u32 s9, s20, s14
	s_addc_u32 s22, s21, s15
	s_mov_b64 s[14:15], 0
	s_waitcnt vmcnt(0)
	v_cmp_lt_i32_e32 vcc, v4, v5
	v_subrev_u32_e32 v3, s2, v4
	v_subrev_u32_e32 v9, s2, v5
	s_and_b64 s[24:25], s[24:25], vcc
	s_and_saveexec_b64 s[20:21], s[24:25]
	s_cbranch_execz .LBB18_4
; %bb.2:
	s_load_dword s3, s[4:5], 0x50
	v_ashrrev_i32_e32 v4, 31, v3
	v_lshlrev_b64 v[5:6], 3, v[3:4]
	v_mov_b32_e32 v2, s1
	v_add_co_u32_e32 v5, vcc, s0, v5
	s_waitcnt lgkmcnt(0)
	s_sub_u32 s23, s3, s2
	s_mul_i32 s0, s13, s7
	s_mul_hi_u32 s1, s12, s7
	s_subb_u32 s24, 0, 0
	s_add_i32 s1, s1, s0
	s_mul_i32 s0, s12, s7
	s_lshl_b64 s[0:1], s[0:1], 4
	v_lshlrev_b64 v[7:8], 4, v[3:4]
	s_add_u32 s0, s10, s0
	v_addc_co_u32_e32 v6, vcc, v2, v6, vcc
	s_addc_u32 s1, s11, s1
	v_mov_b32_e32 v2, s1
	v_add_co_u32_e32 v7, vcc, s0, v7
	v_addc_co_u32_e32 v8, vcc, v2, v8, vcc
	s_mov_b64 s[4:5], 1
.LBB18_3:                               ; =>This Inner Loop Header: Depth=1
	global_load_dwordx2 v[10:11], v[5:6], off
	v_ashrrev_i32_e32 v2, 31, v1
	v_lshlrev_b64 v[12:13], 3, v[1:2]
	v_mov_b32_e32 v14, s19
	v_add_co_u32_e32 v12, vcc, s18, v12
	v_addc_co_u32_e32 v13, vcc, v14, v13, vcc
	v_mov_b32_e32 v4, s24
	v_mov_b32_e32 v14, s16
	;; [unrolled: 1-line block ×3, first 2 shown]
	v_add_u32_e32 v18, s4, v3
	v_cmp_ge_i64_e64 s[0:1], s[4:5], v[14:15]
	v_lshlrev_b64 v[16:17], 4, v[1:2]
	v_add_u32_e32 v1, s8, v1
	v_add_co_u32_e64 v14, s[2:3], s9, v16
	s_waitcnt vmcnt(0)
	v_add_co_u32_e32 v10, vcc, s23, v10
	v_addc_co_u32_e32 v11, vcc, v4, v11, vcc
	global_store_dwordx2 v[12:13], v[10:11], off
	global_load_dwordx4 v[10:13], v[7:8], off
	v_add_co_u32_e32 v5, vcc, 8, v5
	v_addc_co_u32_e32 v6, vcc, 0, v6, vcc
	v_cmp_ge_i32_e32 vcc, v18, v9
	s_or_b64 s[0:1], vcc, s[0:1]
	s_add_u32 s4, s4, 1
	s_addc_u32 s5, s5, 0
	v_mov_b32_e32 v4, s22
	s_and_b64 s[0:1], exec, s[0:1]
	v_add_co_u32_e32 v7, vcc, 16, v7
	v_addc_co_u32_e64 v15, s[2:3], v4, v17, s[2:3]
	s_or_b64 s[14:15], s[0:1], s[14:15]
	v_addc_co_u32_e32 v8, vcc, 0, v8, vcc
	s_waitcnt vmcnt(0)
	global_store_dwordx4 v[14:15], v[10:13], off
	s_andn2_b64 exec, exec, s[14:15]
	s_cbranch_execnz .LBB18_3
.LBB18_4:
	s_or_b64 exec, exec, s[20:21]
	v_sub_u32_e32 v4, v9, v3
	v_ashrrev_i32_e32 v5, 31, v4
	v_cmp_gt_i64_e32 vcc, s[16:17], v[4:5]
	s_and_b64 exec, exec, vcc
	s_cbranch_execz .LBB18_7
; %bb.5:
	v_mul_lo_u32 v1, v4, s8
	v_mov_b32_e32 v6, -1
	s_mov_b64 s[0:1], 0
	v_mov_b32_e32 v10, s19
	v_add3_u32 v8, v0, v1, s6
	v_mov_b32_e32 v0, 0
	v_mov_b32_e32 v7, v6
	;; [unrolled: 1-line block ×6, first 2 shown]
.LBB18_6:                               ; =>This Inner Loop Header: Depth=1
	v_ashrrev_i32_e32 v9, 31, v8
	v_lshlrev_b64 v[12:13], 3, v[8:9]
	v_add_co_u32_e32 v12, vcc, s18, v12
	v_addc_co_u32_e32 v13, vcc, v10, v13, vcc
	global_store_dwordx2 v[12:13], v[6:7], off
	v_lshlrev_b64 v[12:13], 4, v[8:9]
	v_add_u32_e32 v8, s8, v8
	v_add_co_u32_e32 v12, vcc, s9, v12
	v_addc_co_u32_e32 v13, vcc, v11, v13, vcc
	v_add_co_u32_e32 v4, vcc, 1, v4
	v_addc_co_u32_e32 v5, vcc, 0, v5, vcc
	v_cmp_le_i64_e32 vcc, s[16:17], v[4:5]
	global_store_dwordx4 v[12:13], v[0:3], off
	s_or_b64 s[0:1], vcc, s[0:1]
	s_andn2_b64 exec, exec, s[0:1]
	s_cbranch_execnz .LBB18_6
.LBB18_7:
	s_endpgm
	.section	.rodata,"a",@progbits
	.p2align	6, 0x0
	.amdhsa_kernel _ZN9rocsparseL30csr2ell_strided_batched_kernelILj512E21rocsparse_complex_numIdEilEEvT2_PKT0_lPKT1_PKS3_21rocsparse_index_base_S3_PS3_PS4_lSC_
		.amdhsa_group_segment_fixed_size 0
		.amdhsa_private_segment_fixed_size 0
		.amdhsa_kernarg_size 84
		.amdhsa_user_sgpr_count 6
		.amdhsa_user_sgpr_private_segment_buffer 1
		.amdhsa_user_sgpr_dispatch_ptr 0
		.amdhsa_user_sgpr_queue_ptr 0
		.amdhsa_user_sgpr_kernarg_segment_ptr 1
		.amdhsa_user_sgpr_dispatch_id 0
		.amdhsa_user_sgpr_flat_scratch_init 0
		.amdhsa_user_sgpr_private_segment_size 0
		.amdhsa_uses_dynamic_stack 0
		.amdhsa_system_sgpr_private_segment_wavefront_offset 0
		.amdhsa_system_sgpr_workgroup_id_x 1
		.amdhsa_system_sgpr_workgroup_id_y 1
		.amdhsa_system_sgpr_workgroup_id_z 0
		.amdhsa_system_sgpr_workgroup_info 0
		.amdhsa_system_vgpr_workitem_id 0
		.amdhsa_next_free_vgpr 19
		.amdhsa_next_free_sgpr 26
		.amdhsa_reserve_vcc 1
		.amdhsa_reserve_flat_scratch 0
		.amdhsa_float_round_mode_32 0
		.amdhsa_float_round_mode_16_64 0
		.amdhsa_float_denorm_mode_32 3
		.amdhsa_float_denorm_mode_16_64 3
		.amdhsa_dx10_clamp 1
		.amdhsa_ieee_mode 1
		.amdhsa_fp16_overflow 0
		.amdhsa_exception_fp_ieee_invalid_op 0
		.amdhsa_exception_fp_denorm_src 0
		.amdhsa_exception_fp_ieee_div_zero 0
		.amdhsa_exception_fp_ieee_overflow 0
		.amdhsa_exception_fp_ieee_underflow 0
		.amdhsa_exception_fp_ieee_inexact 0
		.amdhsa_exception_int_div_zero 0
	.end_amdhsa_kernel
	.section	.text._ZN9rocsparseL30csr2ell_strided_batched_kernelILj512E21rocsparse_complex_numIdEilEEvT2_PKT0_lPKT1_PKS3_21rocsparse_index_base_S3_PS3_PS4_lSC_,"axG",@progbits,_ZN9rocsparseL30csr2ell_strided_batched_kernelILj512E21rocsparse_complex_numIdEilEEvT2_PKT0_lPKT1_PKS3_21rocsparse_index_base_S3_PS3_PS4_lSC_,comdat
.Lfunc_end18:
	.size	_ZN9rocsparseL30csr2ell_strided_batched_kernelILj512E21rocsparse_complex_numIdEilEEvT2_PKT0_lPKT1_PKS3_21rocsparse_index_base_S3_PS3_PS4_lSC_, .Lfunc_end18-_ZN9rocsparseL30csr2ell_strided_batched_kernelILj512E21rocsparse_complex_numIdEilEEvT2_PKT0_lPKT1_PKS3_21rocsparse_index_base_S3_PS3_PS4_lSC_
                                        ; -- End function
	.set _ZN9rocsparseL30csr2ell_strided_batched_kernelILj512E21rocsparse_complex_numIdEilEEvT2_PKT0_lPKT1_PKS3_21rocsparse_index_base_S3_PS3_PS4_lSC_.num_vgpr, 19
	.set _ZN9rocsparseL30csr2ell_strided_batched_kernelILj512E21rocsparse_complex_numIdEilEEvT2_PKT0_lPKT1_PKS3_21rocsparse_index_base_S3_PS3_PS4_lSC_.num_agpr, 0
	.set _ZN9rocsparseL30csr2ell_strided_batched_kernelILj512E21rocsparse_complex_numIdEilEEvT2_PKT0_lPKT1_PKS3_21rocsparse_index_base_S3_PS3_PS4_lSC_.numbered_sgpr, 26
	.set _ZN9rocsparseL30csr2ell_strided_batched_kernelILj512E21rocsparse_complex_numIdEilEEvT2_PKT0_lPKT1_PKS3_21rocsparse_index_base_S3_PS3_PS4_lSC_.num_named_barrier, 0
	.set _ZN9rocsparseL30csr2ell_strided_batched_kernelILj512E21rocsparse_complex_numIdEilEEvT2_PKT0_lPKT1_PKS3_21rocsparse_index_base_S3_PS3_PS4_lSC_.private_seg_size, 0
	.set _ZN9rocsparseL30csr2ell_strided_batched_kernelILj512E21rocsparse_complex_numIdEilEEvT2_PKT0_lPKT1_PKS3_21rocsparse_index_base_S3_PS3_PS4_lSC_.uses_vcc, 1
	.set _ZN9rocsparseL30csr2ell_strided_batched_kernelILj512E21rocsparse_complex_numIdEilEEvT2_PKT0_lPKT1_PKS3_21rocsparse_index_base_S3_PS3_PS4_lSC_.uses_flat_scratch, 0
	.set _ZN9rocsparseL30csr2ell_strided_batched_kernelILj512E21rocsparse_complex_numIdEilEEvT2_PKT0_lPKT1_PKS3_21rocsparse_index_base_S3_PS3_PS4_lSC_.has_dyn_sized_stack, 0
	.set _ZN9rocsparseL30csr2ell_strided_batched_kernelILj512E21rocsparse_complex_numIdEilEEvT2_PKT0_lPKT1_PKS3_21rocsparse_index_base_S3_PS3_PS4_lSC_.has_recursion, 0
	.set _ZN9rocsparseL30csr2ell_strided_batched_kernelILj512E21rocsparse_complex_numIdEilEEvT2_PKT0_lPKT1_PKS3_21rocsparse_index_base_S3_PS3_PS4_lSC_.has_indirect_call, 0
	.section	.AMDGPU.csdata,"",@progbits
; Kernel info:
; codeLenInByte = 592
; TotalNumSgprs: 30
; NumVgprs: 19
; ScratchSize: 0
; MemoryBound: 0
; FloatMode: 240
; IeeeMode: 1
; LDSByteSize: 0 bytes/workgroup (compile time only)
; SGPRBlocks: 3
; VGPRBlocks: 4
; NumSGPRsForWavesPerEU: 30
; NumVGPRsForWavesPerEU: 19
; Occupancy: 10
; WaveLimiterHint : 0
; COMPUTE_PGM_RSRC2:SCRATCH_EN: 0
; COMPUTE_PGM_RSRC2:USER_SGPR: 6
; COMPUTE_PGM_RSRC2:TRAP_HANDLER: 0
; COMPUTE_PGM_RSRC2:TGID_X_EN: 1
; COMPUTE_PGM_RSRC2:TGID_Y_EN: 1
; COMPUTE_PGM_RSRC2:TGID_Z_EN: 0
; COMPUTE_PGM_RSRC2:TIDIG_COMP_CNT: 0
	.section	.text._ZN9rocsparseL30csr2ell_strided_batched_kernelILj512E21rocsparse_complex_numIdEllEEvT2_PKT0_lPKT1_PKS3_21rocsparse_index_base_S3_PS3_PS4_lSC_,"axG",@progbits,_ZN9rocsparseL30csr2ell_strided_batched_kernelILj512E21rocsparse_complex_numIdEllEEvT2_PKT0_lPKT1_PKS3_21rocsparse_index_base_S3_PS3_PS4_lSC_,comdat
	.globl	_ZN9rocsparseL30csr2ell_strided_batched_kernelILj512E21rocsparse_complex_numIdEllEEvT2_PKT0_lPKT1_PKS3_21rocsparse_index_base_S3_PS3_PS4_lSC_ ; -- Begin function _ZN9rocsparseL30csr2ell_strided_batched_kernelILj512E21rocsparse_complex_numIdEllEEvT2_PKT0_lPKT1_PKS3_21rocsparse_index_base_S3_PS3_PS4_lSC_
	.p2align	8
	.type	_ZN9rocsparseL30csr2ell_strided_batched_kernelILj512E21rocsparse_complex_numIdEllEEvT2_PKT0_lPKT1_PKS3_21rocsparse_index_base_S3_PS3_PS4_lSC_,@function
_ZN9rocsparseL30csr2ell_strided_batched_kernelILj512E21rocsparse_complex_numIdEllEEvT2_PKT0_lPKT1_PKS3_21rocsparse_index_base_S3_PS3_PS4_lSC_: ; @_ZN9rocsparseL30csr2ell_strided_batched_kernelILj512E21rocsparse_complex_numIdEllEEvT2_PKT0_lPKT1_PKS3_21rocsparse_index_base_S3_PS3_PS4_lSC_
; %bb.0:
	s_load_dwordx8 s[16:23], s[4:5], 0x0
	v_lshl_or_b32 v4, s6, 9, v0
	v_mov_b32_e32 v5, 0
	s_waitcnt lgkmcnt(0)
	v_cmp_gt_i64_e32 vcc, s[16:17], v[4:5]
	s_and_saveexec_b64 s[0:1], vcc
	s_cbranch_execz .LBB19_7
; %bb.1:
	v_lshlrev_b64 v[6:7], 3, v[4:5]
	v_mov_b32_e32 v1, s23
	v_add_co_u32_e32 v0, vcc, s22, v6
	v_addc_co_u32_e32 v1, vcc, v1, v7, vcc
	global_load_dwordx4 v[0:3], v[0:1], off
	s_load_dwordx8 s[8:15], s[4:5], 0x30
	s_load_dwordx2 s[22:23], s[4:5], 0x20
	s_load_dword s0, s[4:5], 0x28
	s_waitcnt lgkmcnt(0)
	v_cmp_gt_i64_e64 s[24:25], s[8:9], 0
	s_mul_i32 s1, s15, s7
	s_mul_hi_u32 s3, s14, s7
	s_mul_i32 s2, s14, s7
	s_add_i32 s3, s3, s1
	s_mov_b64 s[14:15], 0
	s_waitcnt vmcnt(0)
	v_subrev_co_u32_e32 v8, vcc, s0, v0
	v_subbrev_co_u32_e32 v14, vcc, 0, v1, vcc
	v_subrev_co_u32_e32 v1, vcc, s0, v2
	v_subbrev_co_u32_e32 v2, vcc, 0, v3, vcc
	v_ashrrev_i32_e32 v9, 31, v8
	v_cmp_gt_i64_e32 vcc, v[1:2], v[8:9]
	s_and_b64 s[26:27], s[24:25], vcc
	s_and_saveexec_b64 s[24:25], s[26:27]
	s_cbranch_execz .LBB19_4
; %bb.2:
	s_load_dword s1, s[4:5], 0x50
	s_mul_i32 s4, s21, s7
	s_mul_hi_u32 s5, s20, s7
	s_add_i32 s5, s5, s4
	s_mul_i32 s4, s20, s7
	s_lshl_b64 s[4:5], s[4:5], 4
	s_add_u32 s6, s18, s4
	s_addc_u32 s7, s19, s5
	s_lshl_b64 s[4:5], s[2:3], 4
	s_add_u32 s18, s12, s4
	s_addc_u32 s19, s13, s5
	v_subrev_u32_e32 v0, s0, v0
	s_waitcnt lgkmcnt(0)
	s_sub_u32 s20, s1, s0
	v_add_u32_e32 v0, 1, v0
	v_mov_b32_e32 v13, v9
	s_subb_u32 s21, 0, 0
	v_ashrrev_i32_e32 v3, 31, v0
	s_mov_b64 s[4:5], 1
	v_mov_b32_e32 v10, v4
	v_mov_b32_e32 v12, v8
	;; [unrolled: 1-line block ×3, first 2 shown]
.LBB19_3:                               ; =>This Inner Loop Header: Depth=1
	v_lshlrev_b64 v[15:16], 3, v[12:13]
	v_mov_b32_e32 v11, s23
	v_add_co_u32_e32 v15, vcc, s22, v15
	v_addc_co_u32_e32 v16, vcc, v11, v16, vcc
	global_load_dwordx2 v[15:16], v[15:16], off
	v_mov_b32_e32 v11, s21
	v_mov_b32_e32 v19, s11
	v_lshlrev_b64 v[12:13], 4, v[12:13]
	s_waitcnt vmcnt(0)
	v_add_co_u32_e32 v15, vcc, s20, v15
	v_addc_co_u32_e32 v16, vcc, v11, v16, vcc
	v_ashrrev_i32_e32 v11, 31, v10
	v_lshlrev_b64 v[17:18], 3, v[10:11]
	v_add_co_u32_e32 v17, vcc, s10, v17
	v_addc_co_u32_e32 v18, vcc, v19, v18, vcc
	global_store_dwordx2 v[17:18], v[15:16], off
	v_add_co_u32_e32 v12, vcc, s6, v12
	v_mov_b32_e32 v15, s7
	v_addc_co_u32_e32 v13, vcc, v15, v13, vcc
	v_lshlrev_b64 v[15:16], 4, v[10:11]
	v_mov_b32_e32 v11, s19
	v_add_co_u32_e32 v19, vcc, s18, v15
	v_addc_co_u32_e32 v20, vcc, v11, v16, vcc
	global_load_dwordx4 v[15:18], v[12:13], off
	v_add_u32_e32 v12, 1, v9
	v_add_co_u32_e32 v9, vcc, s4, v0
	v_mov_b32_e32 v11, s5
	v_addc_co_u32_e32 v11, vcc, v3, v11, vcc
	v_ashrrev_i32_e32 v13, 31, v12
	v_add_u32_e32 v10, s16, v10
	s_waitcnt vmcnt(0)
	global_store_dwordx4 v[19:20], v[15:18], off
	s_nop 0
	v_add_co_u32_e32 v15, vcc, -1, v9
	v_addc_co_u32_e32 v16, vcc, -1, v11, vcc
	v_cmp_le_i64_e32 vcc, v[1:2], v[15:16]
	v_mov_b32_e32 v16, s9
	v_mov_b32_e32 v15, s8
	v_cmp_ge_i64_e64 s[0:1], s[4:5], v[15:16]
	v_mov_b32_e32 v9, v12
	s_or_b64 s[0:1], vcc, s[0:1]
	s_add_u32 s4, s4, 1
	s_addc_u32 s5, s5, 0
	s_and_b64 s[0:1], exec, s[0:1]
	s_or_b64 s[14:15], s[0:1], s[14:15]
	s_andn2_b64 exec, exec, s[14:15]
	s_cbranch_execnz .LBB19_3
.LBB19_4:
	s_or_b64 exec, exec, s[24:25]
	v_sub_co_u32_e32 v8, vcc, v1, v8
	v_subb_co_u32_e32 v9, vcc, v2, v14, vcc
	v_cmp_gt_i64_e32 vcc, s[8:9], v[8:9]
	s_and_b64 exec, exec, vcc
	s_cbranch_execz .LBB19_7
; %bb.5:
	v_mul_lo_u32 v2, s17, v8
	v_mul_lo_u32 v3, s16, v9
	v_mad_u64_u32 v[0:1], s[0:1], s16, v8, 0
	s_lshl_b64 s[0:1], s[2:3], 4
	s_lshl_b64 s[4:5], s[16:17], 3
	v_add3_u32 v1, v1, v3, v2
	v_lshlrev_b64 v[2:3], 3, v[0:1]
	v_lshlrev_b64 v[0:1], 4, v[0:1]
	v_add_co_u32_e32 v2, vcc, v2, v6
	v_addc_co_u32_e32 v3, vcc, v3, v7, vcc
	v_mov_b32_e32 v7, s11
	v_add_co_u32_e32 v6, vcc, s10, v2
	v_addc_co_u32_e32 v7, vcc, v7, v3, vcc
	v_mov_b32_e32 v2, s1
	v_add_co_u32_e32 v3, vcc, s0, v0
	v_addc_co_u32_e32 v2, vcc, v1, v2, vcc
	v_lshlrev_b64 v[0:1], 4, v[4:5]
	s_lshl_b64 s[2:3], s[16:17], 4
	v_add_co_u32_e32 v0, vcc, v3, v0
	v_addc_co_u32_e32 v1, vcc, v2, v1, vcc
	v_mov_b32_e32 v2, s13
	v_add_co_u32_e32 v0, vcc, s12, v0
	v_addc_co_u32_e32 v1, vcc, v2, v1, vcc
	v_add_co_u32_e32 v4, vcc, 8, v0
	v_addc_co_u32_e32 v5, vcc, 0, v1, vcc
	s_mov_b64 s[6:7], 0
	v_mov_b32_e32 v10, -1
	v_mov_b32_e32 v0, 0
.LBB19_6:                               ; =>This Inner Loop Header: Depth=1
	v_add_co_u32_e32 v8, vcc, 1, v8
	v_mov_b32_e32 v11, v10
	v_addc_co_u32_e32 v9, vcc, 0, v9, vcc
	v_mov_b32_e32 v1, v0
	v_mov_b32_e32 v2, v0
	;; [unrolled: 1-line block ×4, first 2 shown]
	global_store_dwordx2 v[6:7], v[10:11], off
	global_store_dwordx4 v[4:5], v[0:3], off offset:-8
	v_add_co_u32_e32 v6, vcc, s4, v6
	v_addc_co_u32_e32 v7, vcc, v7, v12, vcc
	v_cmp_le_i64_e32 vcc, s[8:9], v[8:9]
	v_mov_b32_e32 v13, s3
	v_add_co_u32_e64 v4, s[0:1], s2, v4
	s_or_b64 s[6:7], vcc, s[6:7]
	v_addc_co_u32_e64 v5, vcc, v5, v13, s[0:1]
	s_andn2_b64 exec, exec, s[6:7]
	s_cbranch_execnz .LBB19_6
.LBB19_7:
	s_endpgm
	.section	.rodata,"a",@progbits
	.p2align	6, 0x0
	.amdhsa_kernel _ZN9rocsparseL30csr2ell_strided_batched_kernelILj512E21rocsparse_complex_numIdEllEEvT2_PKT0_lPKT1_PKS3_21rocsparse_index_base_S3_PS3_PS4_lSC_
		.amdhsa_group_segment_fixed_size 0
		.amdhsa_private_segment_fixed_size 0
		.amdhsa_kernarg_size 84
		.amdhsa_user_sgpr_count 6
		.amdhsa_user_sgpr_private_segment_buffer 1
		.amdhsa_user_sgpr_dispatch_ptr 0
		.amdhsa_user_sgpr_queue_ptr 0
		.amdhsa_user_sgpr_kernarg_segment_ptr 1
		.amdhsa_user_sgpr_dispatch_id 0
		.amdhsa_user_sgpr_flat_scratch_init 0
		.amdhsa_user_sgpr_private_segment_size 0
		.amdhsa_uses_dynamic_stack 0
		.amdhsa_system_sgpr_private_segment_wavefront_offset 0
		.amdhsa_system_sgpr_workgroup_id_x 1
		.amdhsa_system_sgpr_workgroup_id_y 1
		.amdhsa_system_sgpr_workgroup_id_z 0
		.amdhsa_system_sgpr_workgroup_info 0
		.amdhsa_system_vgpr_workitem_id 0
		.amdhsa_next_free_vgpr 21
		.amdhsa_next_free_sgpr 28
		.amdhsa_reserve_vcc 1
		.amdhsa_reserve_flat_scratch 0
		.amdhsa_float_round_mode_32 0
		.amdhsa_float_round_mode_16_64 0
		.amdhsa_float_denorm_mode_32 3
		.amdhsa_float_denorm_mode_16_64 3
		.amdhsa_dx10_clamp 1
		.amdhsa_ieee_mode 1
		.amdhsa_fp16_overflow 0
		.amdhsa_exception_fp_ieee_invalid_op 0
		.amdhsa_exception_fp_denorm_src 0
		.amdhsa_exception_fp_ieee_div_zero 0
		.amdhsa_exception_fp_ieee_overflow 0
		.amdhsa_exception_fp_ieee_underflow 0
		.amdhsa_exception_fp_ieee_inexact 0
		.amdhsa_exception_int_div_zero 0
	.end_amdhsa_kernel
	.section	.text._ZN9rocsparseL30csr2ell_strided_batched_kernelILj512E21rocsparse_complex_numIdEllEEvT2_PKT0_lPKT1_PKS3_21rocsparse_index_base_S3_PS3_PS4_lSC_,"axG",@progbits,_ZN9rocsparseL30csr2ell_strided_batched_kernelILj512E21rocsparse_complex_numIdEllEEvT2_PKT0_lPKT1_PKS3_21rocsparse_index_base_S3_PS3_PS4_lSC_,comdat
.Lfunc_end19:
	.size	_ZN9rocsparseL30csr2ell_strided_batched_kernelILj512E21rocsparse_complex_numIdEllEEvT2_PKT0_lPKT1_PKS3_21rocsparse_index_base_S3_PS3_PS4_lSC_, .Lfunc_end19-_ZN9rocsparseL30csr2ell_strided_batched_kernelILj512E21rocsparse_complex_numIdEllEEvT2_PKT0_lPKT1_PKS3_21rocsparse_index_base_S3_PS3_PS4_lSC_
                                        ; -- End function
	.set _ZN9rocsparseL30csr2ell_strided_batched_kernelILj512E21rocsparse_complex_numIdEllEEvT2_PKT0_lPKT1_PKS3_21rocsparse_index_base_S3_PS3_PS4_lSC_.num_vgpr, 21
	.set _ZN9rocsparseL30csr2ell_strided_batched_kernelILj512E21rocsparse_complex_numIdEllEEvT2_PKT0_lPKT1_PKS3_21rocsparse_index_base_S3_PS3_PS4_lSC_.num_agpr, 0
	.set _ZN9rocsparseL30csr2ell_strided_batched_kernelILj512E21rocsparse_complex_numIdEllEEvT2_PKT0_lPKT1_PKS3_21rocsparse_index_base_S3_PS3_PS4_lSC_.numbered_sgpr, 28
	.set _ZN9rocsparseL30csr2ell_strided_batched_kernelILj512E21rocsparse_complex_numIdEllEEvT2_PKT0_lPKT1_PKS3_21rocsparse_index_base_S3_PS3_PS4_lSC_.num_named_barrier, 0
	.set _ZN9rocsparseL30csr2ell_strided_batched_kernelILj512E21rocsparse_complex_numIdEllEEvT2_PKT0_lPKT1_PKS3_21rocsparse_index_base_S3_PS3_PS4_lSC_.private_seg_size, 0
	.set _ZN9rocsparseL30csr2ell_strided_batched_kernelILj512E21rocsparse_complex_numIdEllEEvT2_PKT0_lPKT1_PKS3_21rocsparse_index_base_S3_PS3_PS4_lSC_.uses_vcc, 1
	.set _ZN9rocsparseL30csr2ell_strided_batched_kernelILj512E21rocsparse_complex_numIdEllEEvT2_PKT0_lPKT1_PKS3_21rocsparse_index_base_S3_PS3_PS4_lSC_.uses_flat_scratch, 0
	.set _ZN9rocsparseL30csr2ell_strided_batched_kernelILj512E21rocsparse_complex_numIdEllEEvT2_PKT0_lPKT1_PKS3_21rocsparse_index_base_S3_PS3_PS4_lSC_.has_dyn_sized_stack, 0
	.set _ZN9rocsparseL30csr2ell_strided_batched_kernelILj512E21rocsparse_complex_numIdEllEEvT2_PKT0_lPKT1_PKS3_21rocsparse_index_base_S3_PS3_PS4_lSC_.has_recursion, 0
	.set _ZN9rocsparseL30csr2ell_strided_batched_kernelILj512E21rocsparse_complex_numIdEllEEvT2_PKT0_lPKT1_PKS3_21rocsparse_index_base_S3_PS3_PS4_lSC_.has_indirect_call, 0
	.section	.AMDGPU.csdata,"",@progbits
; Kernel info:
; codeLenInByte = 732
; TotalNumSgprs: 32
; NumVgprs: 21
; ScratchSize: 0
; MemoryBound: 0
; FloatMode: 240
; IeeeMode: 1
; LDSByteSize: 0 bytes/workgroup (compile time only)
; SGPRBlocks: 3
; VGPRBlocks: 5
; NumSGPRsForWavesPerEU: 32
; NumVGPRsForWavesPerEU: 21
; Occupancy: 10
; WaveLimiterHint : 0
; COMPUTE_PGM_RSRC2:SCRATCH_EN: 0
; COMPUTE_PGM_RSRC2:USER_SGPR: 6
; COMPUTE_PGM_RSRC2:TRAP_HANDLER: 0
; COMPUTE_PGM_RSRC2:TGID_X_EN: 1
; COMPUTE_PGM_RSRC2:TGID_Y_EN: 1
; COMPUTE_PGM_RSRC2:TGID_Z_EN: 0
; COMPUTE_PGM_RSRC2:TIDIG_COMP_CNT: 0
	.section	.AMDGPU.gpr_maximums,"",@progbits
	.set amdgpu.max_num_vgpr, 0
	.set amdgpu.max_num_agpr, 0
	.set amdgpu.max_num_sgpr, 0
	.section	.AMDGPU.csdata,"",@progbits
	.type	__hip_cuid_9321cb5d63cf3ca8,@object ; @__hip_cuid_9321cb5d63cf3ca8
	.section	.bss,"aw",@nobits
	.globl	__hip_cuid_9321cb5d63cf3ca8
__hip_cuid_9321cb5d63cf3ca8:
	.byte	0                               ; 0x0
	.size	__hip_cuid_9321cb5d63cf3ca8, 1

	.ident	"AMD clang version 22.0.0git (https://github.com/RadeonOpenCompute/llvm-project roc-7.2.4 26084 f58b06dce1f9c15707c5f808fd002e18c2accf7e)"
	.section	".note.GNU-stack","",@progbits
	.addrsig
	.addrsig_sym __hip_cuid_9321cb5d63cf3ca8
	.amdgpu_metadata
---
amdhsa.kernels:
  - .args:
      - .offset:         0
        .size:           4
        .value_kind:     by_value
      - .address_space:  global
        .offset:         8
        .size:           8
        .value_kind:     global_buffer
      - .offset:         16
        .size:           8
        .value_kind:     by_value
      - .address_space:  global
        .offset:         24
        .size:           8
        .value_kind:     global_buffer
      - .address_space:  global
        .offset:         32
        .size:           8
        .value_kind:     global_buffer
      - .offset:         40
        .size:           4
        .value_kind:     by_value
      - .offset:         44
        .size:           4
        .value_kind:     by_value
      - .address_space:  global
        .offset:         48
        .size:           8
        .value_kind:     global_buffer
      - .address_space:  global
        .offset:         56
        .size:           8
        .value_kind:     global_buffer
      - .offset:         64
        .size:           8
        .value_kind:     by_value
      - .offset:         72
        .size:           4
        .value_kind:     by_value
    .group_segment_fixed_size: 0
    .kernarg_segment_align: 8
    .kernarg_segment_size: 76
    .language:       OpenCL C
    .language_version:
      - 2
      - 0
    .max_flat_workgroup_size: 512
    .name:           _ZN9rocsparseL30csr2ell_strided_batched_kernelILj512EiiiEEvT2_PKT0_lPKT1_PKS1_21rocsparse_index_base_S1_PS1_PS2_lSA_
    .private_segment_fixed_size: 0
    .sgpr_count:     26
    .sgpr_spill_count: 0
    .symbol:         _ZN9rocsparseL30csr2ell_strided_batched_kernelILj512EiiiEEvT2_PKT0_lPKT1_PKS1_21rocsparse_index_base_S1_PS1_PS2_lSA_.kd
    .uniform_work_group_size: 1
    .uses_dynamic_stack: false
    .vgpr_count:     16
    .vgpr_spill_count: 0
    .wavefront_size: 64
  - .args:
      - .offset:         0
        .size:           4
        .value_kind:     by_value
      - .address_space:  global
        .offset:         8
        .size:           8
        .value_kind:     global_buffer
      - .offset:         16
        .size:           8
        .value_kind:     by_value
      - .address_space:  global
        .offset:         24
        .size:           8
        .value_kind:     global_buffer
      - .address_space:  global
        .offset:         32
        .size:           8
        .value_kind:     global_buffer
      - .offset:         40
        .size:           4
        .value_kind:     by_value
      - .offset:         44
        .size:           4
        .value_kind:     by_value
      - .address_space:  global
        .offset:         48
        .size:           8
        .value_kind:     global_buffer
      - .address_space:  global
        .offset:         56
        .size:           8
        .value_kind:     global_buffer
      - .offset:         64
        .size:           8
        .value_kind:     by_value
      - .offset:         72
        .size:           4
        .value_kind:     by_value
    .group_segment_fixed_size: 0
    .kernarg_segment_align: 8
    .kernarg_segment_size: 76
    .language:       OpenCL C
    .language_version:
      - 2
      - 0
    .max_flat_workgroup_size: 512
    .name:           _ZN9rocsparseL30csr2ell_strided_batched_kernelILj512EiliEEvT2_PKT0_lPKT1_PKS1_21rocsparse_index_base_S1_PS1_PS2_lSA_
    .private_segment_fixed_size: 0
    .sgpr_count:     26
    .sgpr_spill_count: 0
    .symbol:         _ZN9rocsparseL30csr2ell_strided_batched_kernelILj512EiliEEvT2_PKT0_lPKT1_PKS1_21rocsparse_index_base_S1_PS1_PS2_lSA_.kd
    .uniform_work_group_size: 1
    .uses_dynamic_stack: false
    .vgpr_count:     16
    .vgpr_spill_count: 0
    .wavefront_size: 64
  - .args:
      - .offset:         0
        .size:           8
        .value_kind:     by_value
      - .address_space:  global
        .offset:         8
        .size:           8
        .value_kind:     global_buffer
      - .offset:         16
        .size:           8
        .value_kind:     by_value
      - .address_space:  global
        .offset:         24
        .size:           8
        .value_kind:     global_buffer
      - .address_space:  global
        .offset:         32
        .size:           8
        .value_kind:     global_buffer
      - .offset:         40
        .size:           4
        .value_kind:     by_value
      - .offset:         48
        .size:           8
        .value_kind:     by_value
      - .address_space:  global
        .offset:         56
        .size:           8
        .value_kind:     global_buffer
      - .address_space:  global
        .offset:         64
        .size:           8
        .value_kind:     global_buffer
      - .offset:         72
        .size:           8
        .value_kind:     by_value
      - .offset:         80
        .size:           4
        .value_kind:     by_value
    .group_segment_fixed_size: 0
    .kernarg_segment_align: 8
    .kernarg_segment_size: 84
    .language:       OpenCL C
    .language_version:
      - 2
      - 0
    .max_flat_workgroup_size: 512
    .name:           _ZN9rocsparseL30csr2ell_strided_batched_kernelILj512EiilEEvT2_PKT0_lPKT1_PKS1_21rocsparse_index_base_S1_PS1_PS2_lSA_
    .private_segment_fixed_size: 0
    .sgpr_count:     30
    .sgpr_spill_count: 0
    .symbol:         _ZN9rocsparseL30csr2ell_strided_batched_kernelILj512EiilEEvT2_PKT0_lPKT1_PKS1_21rocsparse_index_base_S1_PS1_PS2_lSA_.kd
    .uniform_work_group_size: 1
    .uses_dynamic_stack: false
    .vgpr_count:     20
    .vgpr_spill_count: 0
    .wavefront_size: 64
  - .args:
      - .offset:         0
        .size:           8
        .value_kind:     by_value
      - .address_space:  global
        .offset:         8
        .size:           8
        .value_kind:     global_buffer
      - .offset:         16
        .size:           8
        .value_kind:     by_value
      - .address_space:  global
        .offset:         24
        .size:           8
        .value_kind:     global_buffer
      - .address_space:  global
        .offset:         32
        .size:           8
        .value_kind:     global_buffer
      - .offset:         40
        .size:           4
        .value_kind:     by_value
      - .offset:         48
        .size:           8
        .value_kind:     by_value
      - .address_space:  global
        .offset:         56
        .size:           8
        .value_kind:     global_buffer
      - .address_space:  global
        .offset:         64
        .size:           8
        .value_kind:     global_buffer
      - .offset:         72
        .size:           8
        .value_kind:     by_value
      - .offset:         80
        .size:           4
        .value_kind:     by_value
    .group_segment_fixed_size: 0
    .kernarg_segment_align: 8
    .kernarg_segment_size: 84
    .language:       OpenCL C
    .language_version:
      - 2
      - 0
    .max_flat_workgroup_size: 512
    .name:           _ZN9rocsparseL30csr2ell_strided_batched_kernelILj512EillEEvT2_PKT0_lPKT1_PKS1_21rocsparse_index_base_S1_PS1_PS2_lSA_
    .private_segment_fixed_size: 0
    .sgpr_count:     32
    .sgpr_spill_count: 0
    .symbol:         _ZN9rocsparseL30csr2ell_strided_batched_kernelILj512EillEEvT2_PKT0_lPKT1_PKS1_21rocsparse_index_base_S1_PS1_PS2_lSA_.kd
    .uniform_work_group_size: 1
    .uses_dynamic_stack: false
    .vgpr_count:     20
    .vgpr_spill_count: 0
    .wavefront_size: 64
  - .args:
      - .offset:         0
        .size:           4
        .value_kind:     by_value
      - .address_space:  global
        .offset:         8
        .size:           8
        .value_kind:     global_buffer
      - .offset:         16
        .size:           8
        .value_kind:     by_value
      - .address_space:  global
        .offset:         24
        .size:           8
        .value_kind:     global_buffer
      - .address_space:  global
        .offset:         32
        .size:           8
        .value_kind:     global_buffer
      - .offset:         40
        .size:           4
        .value_kind:     by_value
      - .offset:         44
        .size:           4
        .value_kind:     by_value
      - .address_space:  global
        .offset:         48
        .size:           8
        .value_kind:     global_buffer
      - .address_space:  global
        .offset:         56
        .size:           8
        .value_kind:     global_buffer
      - .offset:         64
        .size:           8
        .value_kind:     by_value
      - .offset:         72
        .size:           4
        .value_kind:     by_value
    .group_segment_fixed_size: 0
    .kernarg_segment_align: 8
    .kernarg_segment_size: 76
    .language:       OpenCL C
    .language_version:
      - 2
      - 0
    .max_flat_workgroup_size: 512
    .name:           _ZN9rocsparseL30csr2ell_strided_batched_kernelILj512EfiiEEvT2_PKT0_lPKT1_PKS1_21rocsparse_index_base_S1_PS1_PS2_lSA_
    .private_segment_fixed_size: 0
    .sgpr_count:     26
    .sgpr_spill_count: 0
    .symbol:         _ZN9rocsparseL30csr2ell_strided_batched_kernelILj512EfiiEEvT2_PKT0_lPKT1_PKS1_21rocsparse_index_base_S1_PS1_PS2_lSA_.kd
    .uniform_work_group_size: 1
    .uses_dynamic_stack: false
    .vgpr_count:     17
    .vgpr_spill_count: 0
    .wavefront_size: 64
  - .args:
      - .offset:         0
        .size:           4
        .value_kind:     by_value
      - .address_space:  global
        .offset:         8
        .size:           8
        .value_kind:     global_buffer
      - .offset:         16
        .size:           8
        .value_kind:     by_value
      - .address_space:  global
        .offset:         24
        .size:           8
        .value_kind:     global_buffer
      - .address_space:  global
        .offset:         32
        .size:           8
        .value_kind:     global_buffer
      - .offset:         40
        .size:           4
        .value_kind:     by_value
      - .offset:         44
        .size:           4
        .value_kind:     by_value
      - .address_space:  global
        .offset:         48
        .size:           8
        .value_kind:     global_buffer
      - .address_space:  global
        .offset:         56
        .size:           8
        .value_kind:     global_buffer
      - .offset:         64
        .size:           8
        .value_kind:     by_value
      - .offset:         72
        .size:           4
        .value_kind:     by_value
    .group_segment_fixed_size: 0
    .kernarg_segment_align: 8
    .kernarg_segment_size: 76
    .language:       OpenCL C
    .language_version:
      - 2
      - 0
    .max_flat_workgroup_size: 512
    .name:           _ZN9rocsparseL30csr2ell_strided_batched_kernelILj512EfliEEvT2_PKT0_lPKT1_PKS1_21rocsparse_index_base_S1_PS1_PS2_lSA_
    .private_segment_fixed_size: 0
    .sgpr_count:     26
    .sgpr_spill_count: 0
    .symbol:         _ZN9rocsparseL30csr2ell_strided_batched_kernelILj512EfliEEvT2_PKT0_lPKT1_PKS1_21rocsparse_index_base_S1_PS1_PS2_lSA_.kd
    .uniform_work_group_size: 1
    .uses_dynamic_stack: false
    .vgpr_count:     19
    .vgpr_spill_count: 0
    .wavefront_size: 64
  - .args:
      - .offset:         0
        .size:           8
        .value_kind:     by_value
      - .address_space:  global
        .offset:         8
        .size:           8
        .value_kind:     global_buffer
      - .offset:         16
        .size:           8
        .value_kind:     by_value
      - .address_space:  global
        .offset:         24
        .size:           8
        .value_kind:     global_buffer
      - .address_space:  global
        .offset:         32
        .size:           8
        .value_kind:     global_buffer
      - .offset:         40
        .size:           4
        .value_kind:     by_value
      - .offset:         48
        .size:           8
        .value_kind:     by_value
      - .address_space:  global
        .offset:         56
        .size:           8
        .value_kind:     global_buffer
      - .address_space:  global
        .offset:         64
        .size:           8
        .value_kind:     global_buffer
      - .offset:         72
        .size:           8
        .value_kind:     by_value
      - .offset:         80
        .size:           4
        .value_kind:     by_value
    .group_segment_fixed_size: 0
    .kernarg_segment_align: 8
    .kernarg_segment_size: 84
    .language:       OpenCL C
    .language_version:
      - 2
      - 0
    .max_flat_workgroup_size: 512
    .name:           _ZN9rocsparseL30csr2ell_strided_batched_kernelILj512EfilEEvT2_PKT0_lPKT1_PKS1_21rocsparse_index_base_S1_PS1_PS2_lSA_
    .private_segment_fixed_size: 0
    .sgpr_count:     30
    .sgpr_spill_count: 0
    .symbol:         _ZN9rocsparseL30csr2ell_strided_batched_kernelILj512EfilEEvT2_PKT0_lPKT1_PKS1_21rocsparse_index_base_S1_PS1_PS2_lSA_.kd
    .uniform_work_group_size: 1
    .uses_dynamic_stack: false
    .vgpr_count:     20
    .vgpr_spill_count: 0
    .wavefront_size: 64
  - .args:
      - .offset:         0
        .size:           8
        .value_kind:     by_value
      - .address_space:  global
        .offset:         8
        .size:           8
        .value_kind:     global_buffer
      - .offset:         16
        .size:           8
        .value_kind:     by_value
      - .address_space:  global
        .offset:         24
        .size:           8
        .value_kind:     global_buffer
      - .address_space:  global
        .offset:         32
        .size:           8
        .value_kind:     global_buffer
      - .offset:         40
        .size:           4
        .value_kind:     by_value
      - .offset:         48
        .size:           8
        .value_kind:     by_value
      - .address_space:  global
        .offset:         56
        .size:           8
        .value_kind:     global_buffer
      - .address_space:  global
        .offset:         64
        .size:           8
        .value_kind:     global_buffer
      - .offset:         72
        .size:           8
        .value_kind:     by_value
      - .offset:         80
        .size:           4
        .value_kind:     by_value
    .group_segment_fixed_size: 0
    .kernarg_segment_align: 8
    .kernarg_segment_size: 84
    .language:       OpenCL C
    .language_version:
      - 2
      - 0
    .max_flat_workgroup_size: 512
    .name:           _ZN9rocsparseL30csr2ell_strided_batched_kernelILj512EfllEEvT2_PKT0_lPKT1_PKS1_21rocsparse_index_base_S1_PS1_PS2_lSA_
    .private_segment_fixed_size: 0
    .sgpr_count:     32
    .sgpr_spill_count: 0
    .symbol:         _ZN9rocsparseL30csr2ell_strided_batched_kernelILj512EfllEEvT2_PKT0_lPKT1_PKS1_21rocsparse_index_base_S1_PS1_PS2_lSA_.kd
    .uniform_work_group_size: 1
    .uses_dynamic_stack: false
    .vgpr_count:     20
    .vgpr_spill_count: 0
    .wavefront_size: 64
  - .args:
      - .offset:         0
        .size:           4
        .value_kind:     by_value
      - .address_space:  global
        .offset:         8
        .size:           8
        .value_kind:     global_buffer
      - .offset:         16
        .size:           8
        .value_kind:     by_value
      - .address_space:  global
        .offset:         24
        .size:           8
        .value_kind:     global_buffer
      - .address_space:  global
        .offset:         32
        .size:           8
        .value_kind:     global_buffer
      - .offset:         40
        .size:           4
        .value_kind:     by_value
      - .offset:         44
        .size:           4
        .value_kind:     by_value
      - .address_space:  global
        .offset:         48
        .size:           8
        .value_kind:     global_buffer
      - .address_space:  global
        .offset:         56
        .size:           8
        .value_kind:     global_buffer
      - .offset:         64
        .size:           8
        .value_kind:     by_value
      - .offset:         72
        .size:           4
        .value_kind:     by_value
    .group_segment_fixed_size: 0
    .kernarg_segment_align: 8
    .kernarg_segment_size: 76
    .language:       OpenCL C
    .language_version:
      - 2
      - 0
    .max_flat_workgroup_size: 512
    .name:           _ZN9rocsparseL30csr2ell_strided_batched_kernelILj512EdiiEEvT2_PKT0_lPKT1_PKS1_21rocsparse_index_base_S1_PS1_PS2_lSA_
    .private_segment_fixed_size: 0
    .sgpr_count:     26
    .sgpr_spill_count: 0
    .symbol:         _ZN9rocsparseL30csr2ell_strided_batched_kernelILj512EdiiEEvT2_PKT0_lPKT1_PKS1_21rocsparse_index_base_S1_PS1_PS2_lSA_.kd
    .uniform_work_group_size: 1
    .uses_dynamic_stack: false
    .vgpr_count:     19
    .vgpr_spill_count: 0
    .wavefront_size: 64
  - .args:
      - .offset:         0
        .size:           4
        .value_kind:     by_value
      - .address_space:  global
        .offset:         8
        .size:           8
        .value_kind:     global_buffer
      - .offset:         16
        .size:           8
        .value_kind:     by_value
      - .address_space:  global
        .offset:         24
        .size:           8
        .value_kind:     global_buffer
      - .address_space:  global
        .offset:         32
        .size:           8
        .value_kind:     global_buffer
      - .offset:         40
        .size:           4
        .value_kind:     by_value
      - .offset:         44
        .size:           4
        .value_kind:     by_value
      - .address_space:  global
        .offset:         48
        .size:           8
        .value_kind:     global_buffer
      - .address_space:  global
        .offset:         56
        .size:           8
        .value_kind:     global_buffer
      - .offset:         64
        .size:           8
        .value_kind:     by_value
      - .offset:         72
        .size:           4
        .value_kind:     by_value
    .group_segment_fixed_size: 0
    .kernarg_segment_align: 8
    .kernarg_segment_size: 76
    .language:       OpenCL C
    .language_version:
      - 2
      - 0
    .max_flat_workgroup_size: 512
    .name:           _ZN9rocsparseL30csr2ell_strided_batched_kernelILj512EdliEEvT2_PKT0_lPKT1_PKS1_21rocsparse_index_base_S1_PS1_PS2_lSA_
    .private_segment_fixed_size: 0
    .sgpr_count:     26
    .sgpr_spill_count: 0
    .symbol:         _ZN9rocsparseL30csr2ell_strided_batched_kernelILj512EdliEEvT2_PKT0_lPKT1_PKS1_21rocsparse_index_base_S1_PS1_PS2_lSA_.kd
    .uniform_work_group_size: 1
    .uses_dynamic_stack: false
    .vgpr_count:     22
    .vgpr_spill_count: 0
    .wavefront_size: 64
  - .args:
      - .offset:         0
        .size:           8
        .value_kind:     by_value
      - .address_space:  global
        .offset:         8
        .size:           8
        .value_kind:     global_buffer
      - .offset:         16
        .size:           8
        .value_kind:     by_value
      - .address_space:  global
        .offset:         24
        .size:           8
        .value_kind:     global_buffer
      - .address_space:  global
        .offset:         32
        .size:           8
        .value_kind:     global_buffer
      - .offset:         40
        .size:           4
        .value_kind:     by_value
      - .offset:         48
        .size:           8
        .value_kind:     by_value
      - .address_space:  global
        .offset:         56
        .size:           8
        .value_kind:     global_buffer
      - .address_space:  global
        .offset:         64
        .size:           8
        .value_kind:     global_buffer
      - .offset:         72
        .size:           8
        .value_kind:     by_value
      - .offset:         80
        .size:           4
        .value_kind:     by_value
    .group_segment_fixed_size: 0
    .kernarg_segment_align: 8
    .kernarg_segment_size: 84
    .language:       OpenCL C
    .language_version:
      - 2
      - 0
    .max_flat_workgroup_size: 512
    .name:           _ZN9rocsparseL30csr2ell_strided_batched_kernelILj512EdilEEvT2_PKT0_lPKT1_PKS1_21rocsparse_index_base_S1_PS1_PS2_lSA_
    .private_segment_fixed_size: 0
    .sgpr_count:     29
    .sgpr_spill_count: 0
    .symbol:         _ZN9rocsparseL30csr2ell_strided_batched_kernelILj512EdilEEvT2_PKT0_lPKT1_PKS1_21rocsparse_index_base_S1_PS1_PS2_lSA_.kd
    .uniform_work_group_size: 1
    .uses_dynamic_stack: false
    .vgpr_count:     19
    .vgpr_spill_count: 0
    .wavefront_size: 64
  - .args:
      - .offset:         0
        .size:           8
        .value_kind:     by_value
      - .address_space:  global
        .offset:         8
        .size:           8
        .value_kind:     global_buffer
      - .offset:         16
        .size:           8
        .value_kind:     by_value
      - .address_space:  global
        .offset:         24
        .size:           8
        .value_kind:     global_buffer
      - .address_space:  global
        .offset:         32
        .size:           8
        .value_kind:     global_buffer
      - .offset:         40
        .size:           4
        .value_kind:     by_value
      - .offset:         48
        .size:           8
        .value_kind:     by_value
      - .address_space:  global
        .offset:         56
        .size:           8
        .value_kind:     global_buffer
      - .address_space:  global
        .offset:         64
        .size:           8
        .value_kind:     global_buffer
      - .offset:         72
        .size:           8
        .value_kind:     by_value
      - .offset:         80
        .size:           4
        .value_kind:     by_value
    .group_segment_fixed_size: 0
    .kernarg_segment_align: 8
    .kernarg_segment_size: 84
    .language:       OpenCL C
    .language_version:
      - 2
      - 0
    .max_flat_workgroup_size: 512
    .name:           _ZN9rocsparseL30csr2ell_strided_batched_kernelILj512EdllEEvT2_PKT0_lPKT1_PKS1_21rocsparse_index_base_S1_PS1_PS2_lSA_
    .private_segment_fixed_size: 0
    .sgpr_count:     30
    .sgpr_spill_count: 0
    .symbol:         _ZN9rocsparseL30csr2ell_strided_batched_kernelILj512EdllEEvT2_PKT0_lPKT1_PKS1_21rocsparse_index_base_S1_PS1_PS2_lSA_.kd
    .uniform_work_group_size: 1
    .uses_dynamic_stack: false
    .vgpr_count:     24
    .vgpr_spill_count: 0
    .wavefront_size: 64
  - .args:
      - .offset:         0
        .size:           4
        .value_kind:     by_value
      - .address_space:  global
        .offset:         8
        .size:           8
        .value_kind:     global_buffer
      - .offset:         16
        .size:           8
        .value_kind:     by_value
      - .address_space:  global
        .offset:         24
        .size:           8
        .value_kind:     global_buffer
      - .address_space:  global
        .offset:         32
        .size:           8
        .value_kind:     global_buffer
      - .offset:         40
        .size:           4
        .value_kind:     by_value
      - .offset:         44
        .size:           4
        .value_kind:     by_value
      - .address_space:  global
        .offset:         48
        .size:           8
        .value_kind:     global_buffer
      - .address_space:  global
        .offset:         56
        .size:           8
        .value_kind:     global_buffer
      - .offset:         64
        .size:           8
        .value_kind:     by_value
      - .offset:         72
        .size:           4
        .value_kind:     by_value
    .group_segment_fixed_size: 0
    .kernarg_segment_align: 8
    .kernarg_segment_size: 76
    .language:       OpenCL C
    .language_version:
      - 2
      - 0
    .max_flat_workgroup_size: 512
    .name:           _ZN9rocsparseL30csr2ell_strided_batched_kernelILj512E21rocsparse_complex_numIfEiiEEvT2_PKT0_lPKT1_PKS3_21rocsparse_index_base_S3_PS3_PS4_lSC_
    .private_segment_fixed_size: 0
    .sgpr_count:     26
    .sgpr_spill_count: 0
    .symbol:         _ZN9rocsparseL30csr2ell_strided_batched_kernelILj512E21rocsparse_complex_numIfEiiEEvT2_PKT0_lPKT1_PKS3_21rocsparse_index_base_S3_PS3_PS4_lSC_.kd
    .uniform_work_group_size: 1
    .uses_dynamic_stack: false
    .vgpr_count:     16
    .vgpr_spill_count: 0
    .wavefront_size: 64
  - .args:
      - .offset:         0
        .size:           4
        .value_kind:     by_value
      - .address_space:  global
        .offset:         8
        .size:           8
        .value_kind:     global_buffer
      - .offset:         16
        .size:           8
        .value_kind:     by_value
      - .address_space:  global
        .offset:         24
        .size:           8
        .value_kind:     global_buffer
      - .address_space:  global
        .offset:         32
        .size:           8
        .value_kind:     global_buffer
      - .offset:         40
        .size:           4
        .value_kind:     by_value
      - .offset:         44
        .size:           4
        .value_kind:     by_value
      - .address_space:  global
        .offset:         48
        .size:           8
        .value_kind:     global_buffer
      - .address_space:  global
        .offset:         56
        .size:           8
        .value_kind:     global_buffer
      - .offset:         64
        .size:           8
        .value_kind:     by_value
      - .offset:         72
        .size:           4
        .value_kind:     by_value
    .group_segment_fixed_size: 0
    .kernarg_segment_align: 8
    .kernarg_segment_size: 76
    .language:       OpenCL C
    .language_version:
      - 2
      - 0
    .max_flat_workgroup_size: 512
    .name:           _ZN9rocsparseL30csr2ell_strided_batched_kernelILj512E21rocsparse_complex_numIfEliEEvT2_PKT0_lPKT1_PKS3_21rocsparse_index_base_S3_PS3_PS4_lSC_
    .private_segment_fixed_size: 0
    .sgpr_count:     26
    .sgpr_spill_count: 0
    .symbol:         _ZN9rocsparseL30csr2ell_strided_batched_kernelILj512E21rocsparse_complex_numIfEliEEvT2_PKT0_lPKT1_PKS3_21rocsparse_index_base_S3_PS3_PS4_lSC_.kd
    .uniform_work_group_size: 1
    .uses_dynamic_stack: false
    .vgpr_count:     18
    .vgpr_spill_count: 0
    .wavefront_size: 64
  - .args:
      - .offset:         0
        .size:           8
        .value_kind:     by_value
      - .address_space:  global
        .offset:         8
        .size:           8
        .value_kind:     global_buffer
      - .offset:         16
        .size:           8
        .value_kind:     by_value
      - .address_space:  global
        .offset:         24
        .size:           8
        .value_kind:     global_buffer
      - .address_space:  global
        .offset:         32
        .size:           8
        .value_kind:     global_buffer
      - .offset:         40
        .size:           4
        .value_kind:     by_value
      - .offset:         48
        .size:           8
        .value_kind:     by_value
      - .address_space:  global
        .offset:         56
        .size:           8
        .value_kind:     global_buffer
      - .address_space:  global
        .offset:         64
        .size:           8
        .value_kind:     global_buffer
      - .offset:         72
        .size:           8
        .value_kind:     by_value
      - .offset:         80
        .size:           4
        .value_kind:     by_value
    .group_segment_fixed_size: 0
    .kernarg_segment_align: 8
    .kernarg_segment_size: 84
    .language:       OpenCL C
    .language_version:
      - 2
      - 0
    .max_flat_workgroup_size: 512
    .name:           _ZN9rocsparseL30csr2ell_strided_batched_kernelILj512E21rocsparse_complex_numIfEilEEvT2_PKT0_lPKT1_PKS3_21rocsparse_index_base_S3_PS3_PS4_lSC_
    .private_segment_fixed_size: 0
    .sgpr_count:     30
    .sgpr_spill_count: 0
    .symbol:         _ZN9rocsparseL30csr2ell_strided_batched_kernelILj512E21rocsparse_complex_numIfEilEEvT2_PKT0_lPKT1_PKS3_21rocsparse_index_base_S3_PS3_PS4_lSC_.kd
    .uniform_work_group_size: 1
    .uses_dynamic_stack: false
    .vgpr_count:     18
    .vgpr_spill_count: 0
    .wavefront_size: 64
  - .args:
      - .offset:         0
        .size:           8
        .value_kind:     by_value
      - .address_space:  global
        .offset:         8
        .size:           8
        .value_kind:     global_buffer
      - .offset:         16
        .size:           8
        .value_kind:     by_value
      - .address_space:  global
        .offset:         24
        .size:           8
        .value_kind:     global_buffer
      - .address_space:  global
        .offset:         32
        .size:           8
        .value_kind:     global_buffer
      - .offset:         40
        .size:           4
        .value_kind:     by_value
      - .offset:         48
        .size:           8
        .value_kind:     by_value
      - .address_space:  global
        .offset:         56
        .size:           8
        .value_kind:     global_buffer
      - .address_space:  global
        .offset:         64
        .size:           8
        .value_kind:     global_buffer
      - .offset:         72
        .size:           8
        .value_kind:     by_value
      - .offset:         80
        .size:           4
        .value_kind:     by_value
    .group_segment_fixed_size: 0
    .kernarg_segment_align: 8
    .kernarg_segment_size: 84
    .language:       OpenCL C
    .language_version:
      - 2
      - 0
    .max_flat_workgroup_size: 512
    .name:           _ZN9rocsparseL30csr2ell_strided_batched_kernelILj512E21rocsparse_complex_numIfEllEEvT2_PKT0_lPKT1_PKS3_21rocsparse_index_base_S3_PS3_PS4_lSC_
    .private_segment_fixed_size: 0
    .sgpr_count:     29
    .sgpr_spill_count: 0
    .symbol:         _ZN9rocsparseL30csr2ell_strided_batched_kernelILj512E21rocsparse_complex_numIfEllEEvT2_PKT0_lPKT1_PKS3_21rocsparse_index_base_S3_PS3_PS4_lSC_.kd
    .uniform_work_group_size: 1
    .uses_dynamic_stack: false
    .vgpr_count:     21
    .vgpr_spill_count: 0
    .wavefront_size: 64
  - .args:
      - .offset:         0
        .size:           4
        .value_kind:     by_value
      - .address_space:  global
        .offset:         8
        .size:           8
        .value_kind:     global_buffer
      - .offset:         16
        .size:           8
        .value_kind:     by_value
      - .address_space:  global
        .offset:         24
        .size:           8
        .value_kind:     global_buffer
      - .address_space:  global
        .offset:         32
        .size:           8
        .value_kind:     global_buffer
      - .offset:         40
        .size:           4
        .value_kind:     by_value
      - .offset:         44
        .size:           4
        .value_kind:     by_value
      - .address_space:  global
        .offset:         48
        .size:           8
        .value_kind:     global_buffer
      - .address_space:  global
        .offset:         56
        .size:           8
        .value_kind:     global_buffer
      - .offset:         64
        .size:           8
        .value_kind:     by_value
      - .offset:         72
        .size:           4
        .value_kind:     by_value
    .group_segment_fixed_size: 0
    .kernarg_segment_align: 8
    .kernarg_segment_size: 76
    .language:       OpenCL C
    .language_version:
      - 2
      - 0
    .max_flat_workgroup_size: 512
    .name:           _ZN9rocsparseL30csr2ell_strided_batched_kernelILj512E21rocsparse_complex_numIdEiiEEvT2_PKT0_lPKT1_PKS3_21rocsparse_index_base_S3_PS3_PS4_lSC_
    .private_segment_fixed_size: 0
    .sgpr_count:     26
    .sgpr_spill_count: 0
    .symbol:         _ZN9rocsparseL30csr2ell_strided_batched_kernelILj512E21rocsparse_complex_numIdEiiEEvT2_PKT0_lPKT1_PKS3_21rocsparse_index_base_S3_PS3_PS4_lSC_.kd
    .uniform_work_group_size: 1
    .uses_dynamic_stack: false
    .vgpr_count:     18
    .vgpr_spill_count: 0
    .wavefront_size: 64
  - .args:
      - .offset:         0
        .size:           4
        .value_kind:     by_value
      - .address_space:  global
        .offset:         8
        .size:           8
        .value_kind:     global_buffer
      - .offset:         16
        .size:           8
        .value_kind:     by_value
      - .address_space:  global
        .offset:         24
        .size:           8
        .value_kind:     global_buffer
      - .address_space:  global
        .offset:         32
        .size:           8
        .value_kind:     global_buffer
      - .offset:         40
        .size:           4
        .value_kind:     by_value
      - .offset:         44
        .size:           4
        .value_kind:     by_value
      - .address_space:  global
        .offset:         48
        .size:           8
        .value_kind:     global_buffer
      - .address_space:  global
        .offset:         56
        .size:           8
        .value_kind:     global_buffer
      - .offset:         64
        .size:           8
        .value_kind:     by_value
      - .offset:         72
        .size:           4
        .value_kind:     by_value
    .group_segment_fixed_size: 0
    .kernarg_segment_align: 8
    .kernarg_segment_size: 76
    .language:       OpenCL C
    .language_version:
      - 2
      - 0
    .max_flat_workgroup_size: 512
    .name:           _ZN9rocsparseL30csr2ell_strided_batched_kernelILj512E21rocsparse_complex_numIdEliEEvT2_PKT0_lPKT1_PKS3_21rocsparse_index_base_S3_PS3_PS4_lSC_
    .private_segment_fixed_size: 0
    .sgpr_count:     26
    .sgpr_spill_count: 0
    .symbol:         _ZN9rocsparseL30csr2ell_strided_batched_kernelILj512E21rocsparse_complex_numIdEliEEvT2_PKT0_lPKT1_PKS3_21rocsparse_index_base_S3_PS3_PS4_lSC_.kd
    .uniform_work_group_size: 1
    .uses_dynamic_stack: false
    .vgpr_count:     20
    .vgpr_spill_count: 0
    .wavefront_size: 64
  - .args:
      - .offset:         0
        .size:           8
        .value_kind:     by_value
      - .address_space:  global
        .offset:         8
        .size:           8
        .value_kind:     global_buffer
      - .offset:         16
        .size:           8
        .value_kind:     by_value
      - .address_space:  global
        .offset:         24
        .size:           8
        .value_kind:     global_buffer
      - .address_space:  global
        .offset:         32
        .size:           8
        .value_kind:     global_buffer
      - .offset:         40
        .size:           4
        .value_kind:     by_value
      - .offset:         48
        .size:           8
        .value_kind:     by_value
      - .address_space:  global
        .offset:         56
        .size:           8
        .value_kind:     global_buffer
      - .address_space:  global
        .offset:         64
        .size:           8
        .value_kind:     global_buffer
      - .offset:         72
        .size:           8
        .value_kind:     by_value
      - .offset:         80
        .size:           4
        .value_kind:     by_value
    .group_segment_fixed_size: 0
    .kernarg_segment_align: 8
    .kernarg_segment_size: 84
    .language:       OpenCL C
    .language_version:
      - 2
      - 0
    .max_flat_workgroup_size: 512
    .name:           _ZN9rocsparseL30csr2ell_strided_batched_kernelILj512E21rocsparse_complex_numIdEilEEvT2_PKT0_lPKT1_PKS3_21rocsparse_index_base_S3_PS3_PS4_lSC_
    .private_segment_fixed_size: 0
    .sgpr_count:     30
    .sgpr_spill_count: 0
    .symbol:         _ZN9rocsparseL30csr2ell_strided_batched_kernelILj512E21rocsparse_complex_numIdEilEEvT2_PKT0_lPKT1_PKS3_21rocsparse_index_base_S3_PS3_PS4_lSC_.kd
    .uniform_work_group_size: 1
    .uses_dynamic_stack: false
    .vgpr_count:     19
    .vgpr_spill_count: 0
    .wavefront_size: 64
  - .args:
      - .offset:         0
        .size:           8
        .value_kind:     by_value
      - .address_space:  global
        .offset:         8
        .size:           8
        .value_kind:     global_buffer
      - .offset:         16
        .size:           8
        .value_kind:     by_value
      - .address_space:  global
        .offset:         24
        .size:           8
        .value_kind:     global_buffer
      - .address_space:  global
        .offset:         32
        .size:           8
        .value_kind:     global_buffer
      - .offset:         40
        .size:           4
        .value_kind:     by_value
      - .offset:         48
        .size:           8
        .value_kind:     by_value
      - .address_space:  global
        .offset:         56
        .size:           8
        .value_kind:     global_buffer
      - .address_space:  global
        .offset:         64
        .size:           8
        .value_kind:     global_buffer
      - .offset:         72
        .size:           8
        .value_kind:     by_value
      - .offset:         80
        .size:           4
        .value_kind:     by_value
    .group_segment_fixed_size: 0
    .kernarg_segment_align: 8
    .kernarg_segment_size: 84
    .language:       OpenCL C
    .language_version:
      - 2
      - 0
    .max_flat_workgroup_size: 512
    .name:           _ZN9rocsparseL30csr2ell_strided_batched_kernelILj512E21rocsparse_complex_numIdEllEEvT2_PKT0_lPKT1_PKS3_21rocsparse_index_base_S3_PS3_PS4_lSC_
    .private_segment_fixed_size: 0
    .sgpr_count:     32
    .sgpr_spill_count: 0
    .symbol:         _ZN9rocsparseL30csr2ell_strided_batched_kernelILj512E21rocsparse_complex_numIdEllEEvT2_PKT0_lPKT1_PKS3_21rocsparse_index_base_S3_PS3_PS4_lSC_.kd
    .uniform_work_group_size: 1
    .uses_dynamic_stack: false
    .vgpr_count:     21
    .vgpr_spill_count: 0
    .wavefront_size: 64
amdhsa.target:   amdgcn-amd-amdhsa--gfx906
amdhsa.version:
  - 1
  - 2
...

	.end_amdgpu_metadata
